;; amdgpu-corpus repo=ggml-org/llama.cpp kind=compiled arch=gfx1100 opt=O3
	.text
	.amdgcn_target "amdgcn-amd-amdhsa--gfx1100"
	.amdhsa_code_object_version 6
	.section	.text._Z13topk_moe_cudaILi1ELb1EEvPKfPfPiS2_iiff15topk_moe_config,"axG",@progbits,_Z13topk_moe_cudaILi1ELb1EEvPKfPfPiS2_iiff15topk_moe_config,comdat
	.protected	_Z13topk_moe_cudaILi1ELb1EEvPKfPfPiS2_iiff15topk_moe_config ; -- Begin function _Z13topk_moe_cudaILi1ELb1EEvPKfPfPiS2_iiff15topk_moe_config
	.globl	_Z13topk_moe_cudaILi1ELb1EEvPKfPfPiS2_iiff15topk_moe_config
	.p2align	8
	.type	_Z13topk_moe_cudaILi1ELb1EEvPKfPfPiS2_iiff15topk_moe_config,@function
_Z13topk_moe_cudaILi1ELb1EEvPKfPfPiS2_iiff15topk_moe_config: ; @_Z13topk_moe_cudaILi1ELb1EEvPKfPfPiS2_iiff15topk_moe_config
; %bb.0:
	s_clause 0x1
	s_load_b32 s2, s[0:1], 0x44
	s_load_b128 s[16:19], s[0:1], 0x20
	v_bfe_u32 v3, v0, 10, 10
	s_waitcnt lgkmcnt(0)
	s_lshr_b32 s2, s2, 16
	s_delay_alu instid0(VALU_DEP_1) | instid1(SALU_CYCLE_1)
	v_mad_u64_u32 v[1:2], null, s15, s2, v[3:4]
	s_mov_b32 s2, exec_lo
	s_delay_alu instid0(VALU_DEP_1)
	v_cmpx_gt_i32_e64 s16, v1
	s_cbranch_execz .LBB0_43
; %bb.1:
	v_mov_b32_e32 v2, 0
	s_load_b256 s[4:11], s[0:1], 0x0
	v_and_b32_e32 v0, 0x3ff, v0
	s_clause 0x1
	global_load_u16 v3, v2, s[0:1] offset:48
	global_load_u8 v4, v2, s[0:1] offset:50
	v_cmp_eq_u32_e64 s0, 0, v0
	s_waitcnt vmcnt(1)
	v_lshrrev_b32_e32 v2, 8, v3
	v_and_b32_e32 v3, 0xff, v3
	s_waitcnt vmcnt(0)
	v_readfirstlane_b32 s2, v4
	v_mov_b32_e32 v4, 0xff800000
	v_lshlrev_b16 v2, 8, v2
	s_delay_alu instid0(VALU_DEP_3) | instskip(NEXT) | instid1(VALU_DEP_1)
	s_lshl_b32 s2, s2, 16
	v_or_b32_e32 v3, v3, v2
	v_ashrrev_i32_e32 v2, 31, v1
	s_delay_alu instid0(VALU_DEP_2) | instskip(NEXT) | instid1(VALU_DEP_2)
	v_readfirstlane_b32 s1, v3
	v_lshlrev_b64 v[2:3], 2, v[1:2]
	s_delay_alu instid0(VALU_DEP_2) | instskip(NEXT) | instid1(SALU_CYCLE_1)
	s_and_b32 s1, 0xffff, s1
	s_or_b32 s2, s1, s2
	s_and_saveexec_b32 s1, s0
	s_cbranch_execz .LBB0_3
; %bb.2:
	s_waitcnt lgkmcnt(0)
	v_add_co_u32 v4, vcc_lo, s4, v2
	v_add_co_ci_u32_e32 v5, vcc_lo, s5, v3, vcc_lo
	global_load_b32 v4, v[4:5], off
.LBB0_3:
	s_or_b32 exec_lo, exec_lo, s1
	s_bitcmp1_b32 s2, 16
	s_cselect_b32 s1, -1, 0
	s_delay_alu instid0(SALU_CYCLE_1)
	s_and_b32 vcc_lo, exec_lo, s1
	s_cbranch_vccnz .LBB0_9
; %bb.4:
	s_bitcmp0_b32 s2, 0
	s_mov_b32 s3, 0
	s_cbranch_scc0 .LBB0_6
; %bb.5:
	v_mbcnt_lo_u32_b32 v5, -1, 0
	s_delay_alu instid0(VALU_DEP_1)
	v_xor_b32_e32 v6, 16, v5
	v_xor_b32_e32 v9, 8, v5
	;; [unrolled: 1-line block ×5, first 2 shown]
	v_cmp_gt_i32_e32 vcc_lo, 32, v6
	s_waitcnt vmcnt(0)
	v_dual_max_f32 v7, v4, v4 :: v_dual_cndmask_b32 v6, v5, v6
	s_delay_alu instid0(VALU_DEP_1) | instskip(SKIP_1) | instid1(VALU_DEP_3)
	v_max_f32_e32 v7, 0xff800000, v7
	v_cmp_gt_i32_e32 vcc_lo, 32, v9
	v_lshlrev_b32_e32 v6, 2, v6
	ds_bpermute_b32 v8, v6, v7
	v_cndmask_b32_e32 v9, v5, v9, vcc_lo
	v_cmp_gt_i32_e32 vcc_lo, 32, v10
	v_cndmask_b32_e32 v10, v5, v10, vcc_lo
	v_cmp_gt_i32_e32 vcc_lo, 32, v11
	s_delay_alu instid0(VALU_DEP_2) | instskip(SKIP_1) | instid1(VALU_DEP_2)
	v_dual_cndmask_b32 v11, v5, v11 :: v_dual_lshlrev_b32 v10, 2, v10
	v_cmp_gt_i32_e32 vcc_lo, 32, v12
	v_lshlrev_b32_e32 v11, 2, v11
	v_cndmask_b32_e32 v5, v5, v12, vcc_lo
	s_waitcnt lgkmcnt(0)
	v_dual_max_f32 v8, v8, v8 :: v_dual_lshlrev_b32 v9, 2, v9
	s_delay_alu instid0(VALU_DEP_2) | instskip(NEXT) | instid1(VALU_DEP_2)
	v_lshlrev_b32_e32 v5, 2, v5
	v_max_f32_e32 v7, v7, v8
	ds_bpermute_b32 v8, v9, v7
	s_waitcnt lgkmcnt(0)
	v_max_f32_e32 v8, v8, v8
	s_delay_alu instid0(VALU_DEP_1) | instskip(SKIP_3) | instid1(VALU_DEP_1)
	v_max_f32_e32 v7, v7, v8
	ds_bpermute_b32 v8, v10, v7
	s_waitcnt lgkmcnt(0)
	v_max_f32_e32 v8, v8, v8
	v_max_f32_e32 v7, v7, v8
	ds_bpermute_b32 v8, v11, v7
	s_waitcnt lgkmcnt(0)
	v_max_f32_e32 v8, v8, v8
	s_delay_alu instid0(VALU_DEP_1) | instskip(SKIP_3) | instid1(VALU_DEP_1)
	v_max_f32_e32 v7, v7, v8
	ds_bpermute_b32 v8, v5, v7
	s_waitcnt lgkmcnt(0)
	v_max_f32_e32 v8, v8, v8
	v_max_f32_e32 v7, v7, v8
	s_delay_alu instid0(VALU_DEP_1) | instskip(NEXT) | instid1(VALU_DEP_1)
	v_sub_f32_e32 v7, v4, v7
	v_mul_f32_e32 v8, 0x3fb8aa3b, v7
	v_cmp_ngt_f32_e32 vcc_lo, 0xc2ce8ed0, v7
	s_delay_alu instid0(VALU_DEP_2) | instskip(SKIP_1) | instid1(VALU_DEP_2)
	v_fma_f32 v12, 0x3fb8aa3b, v7, -v8
	v_rndne_f32_e32 v13, v8
	v_fmamk_f32 v12, v7, 0x32a5705f, v12
	s_delay_alu instid0(VALU_DEP_2) | instskip(NEXT) | instid1(VALU_DEP_1)
	v_sub_f32_e32 v8, v8, v13
	v_add_f32_e32 v8, v8, v12
	v_cvt_i32_f32_e32 v12, v13
	s_delay_alu instid0(VALU_DEP_2) | instskip(SKIP_2) | instid1(VALU_DEP_1)
	v_exp_f32_e32 v8, v8
	s_waitcnt_depctr 0xfff
	v_ldexp_f32 v8, v8, v12
	v_cndmask_b32_e32 v8, 0, v8, vcc_lo
	v_cmp_nlt_f32_e32 vcc_lo, 0x42b17218, v7
	s_delay_alu instid0(VALU_DEP_2)
	v_cndmask_b32_e32 v7, 0x7f800000, v8, vcc_lo
	ds_bpermute_b32 v6, v6, v7
	s_waitcnt lgkmcnt(0)
	v_add_f32_e32 v6, v7, v6
	ds_bpermute_b32 v8, v9, v6
	s_waitcnt lgkmcnt(0)
	v_add_f32_e32 v6, v6, v8
	ds_bpermute_b32 v8, v10, v6
	s_waitcnt lgkmcnt(0)
	v_add_f32_e32 v6, v6, v8
	ds_bpermute_b32 v8, v11, v6
	s_waitcnt lgkmcnt(0)
	v_add_f32_e32 v6, v6, v8
	ds_bpermute_b32 v5, v5, v6
	s_waitcnt lgkmcnt(0)
	v_add_f32_e32 v5, v6, v5
	s_delay_alu instid0(VALU_DEP_1) | instskip(NEXT) | instid1(VALU_DEP_1)
	v_div_scale_f32 v6, null, v5, v5, 1.0
	v_rcp_f32_e32 v8, v6
	s_waitcnt_depctr 0xfff
	v_fma_f32 v9, -v6, v8, 1.0
	s_delay_alu instid0(VALU_DEP_1) | instskip(SKIP_1) | instid1(VALU_DEP_1)
	v_fmac_f32_e32 v8, v9, v8
	v_div_scale_f32 v9, vcc_lo, 1.0, v5, 1.0
	v_mul_f32_e32 v10, v9, v8
	s_delay_alu instid0(VALU_DEP_1) | instskip(NEXT) | instid1(VALU_DEP_1)
	v_fma_f32 v11, -v6, v10, v9
	v_fmac_f32_e32 v10, v11, v8
	s_delay_alu instid0(VALU_DEP_1) | instskip(NEXT) | instid1(VALU_DEP_1)
	v_fma_f32 v6, -v6, v10, v9
	v_div_fmas_f32 v6, v6, v8, v10
	s_delay_alu instid0(VALU_DEP_1) | instskip(NEXT) | instid1(VALU_DEP_1)
	v_div_fixup_f32 v5, v6, v5, 1.0
	v_mul_f32_e32 v5, v7, v5
	s_and_not1_b32 vcc_lo, exec_lo, s3
	s_cbranch_vccz .LBB0_7
	s_branch .LBB0_8
.LBB0_6:
                                        ; implicit-def: $vgpr5
.LBB0_7:
	s_waitcnt vmcnt(0)
	v_mul_f32_e32 v5, 0xbfb8aa3b, v4
	v_cmp_nlt_f32_e32 vcc_lo, 0x42ce8ed0, v4
	s_delay_alu instid0(VALU_DEP_2) | instskip(SKIP_1) | instid1(VALU_DEP_2)
	v_rndne_f32_e32 v6, v5
	v_fma_f32 v7, 0xbfb8aa3b, v4, -v5
	v_sub_f32_e32 v5, v5, v6
	s_delay_alu instid0(VALU_DEP_2) | instskip(SKIP_1) | instid1(VALU_DEP_2)
	v_fmamk_f32 v7, v4, 0xb2a5705f, v7
	v_cvt_i32_f32_e32 v6, v6
	v_add_f32_e32 v5, v5, v7
	s_delay_alu instid0(VALU_DEP_1) | instskip(SKIP_2) | instid1(VALU_DEP_1)
	v_exp_f32_e32 v5, v5
	s_waitcnt_depctr 0xfff
	v_ldexp_f32 v5, v5, v6
	v_cndmask_b32_e32 v5, 0, v5, vcc_lo
	v_cmp_ngt_f32_e32 vcc_lo, 0xc2b17218, v4
	s_delay_alu instid0(VALU_DEP_2) | instskip(NEXT) | instid1(VALU_DEP_1)
	v_cndmask_b32_e32 v4, 0x7f800000, v5, vcc_lo
	v_add_f32_e32 v4, 1.0, v4
	s_delay_alu instid0(VALU_DEP_1) | instskip(NEXT) | instid1(VALU_DEP_1)
	v_div_scale_f32 v5, null, v4, v4, 1.0
	v_rcp_f32_e32 v6, v5
	s_waitcnt_depctr 0xfff
	v_fma_f32 v7, -v5, v6, 1.0
	s_delay_alu instid0(VALU_DEP_1) | instskip(SKIP_1) | instid1(VALU_DEP_1)
	v_fmac_f32_e32 v6, v7, v6
	v_div_scale_f32 v7, vcc_lo, 1.0, v4, 1.0
	v_mul_f32_e32 v8, v7, v6
	s_delay_alu instid0(VALU_DEP_1) | instskip(NEXT) | instid1(VALU_DEP_1)
	v_fma_f32 v9, -v5, v8, v7
	v_fmac_f32_e32 v8, v9, v6
	s_delay_alu instid0(VALU_DEP_1) | instskip(NEXT) | instid1(VALU_DEP_1)
	v_fma_f32 v5, -v5, v8, v7
	v_div_fmas_f32 v5, v5, v6, v8
	s_delay_alu instid0(VALU_DEP_1)
	v_div_fixup_f32 v5, v5, v4, 1.0
.LBB0_8:
	s_waitcnt vmcnt(0)
	s_delay_alu instid0(VALU_DEP_1)
	v_mov_b32_e32 v4, v5
.LBB0_9:
	s_waitcnt vmcnt(0)
	s_delay_alu instid0(VALU_DEP_1)
	v_cmp_o_f32_e32 vcc_lo, v4, v4
	v_mov_b32_e32 v7, 0xff800000
	v_cndmask_b32_e32 v6, 0xff7fffff, v4, vcc_lo
	s_and_saveexec_b32 s3, s0
	s_cbranch_execz .LBB0_11
; %bb.10:
	s_waitcnt lgkmcnt(0)
	s_load_b32 s0, s[10:11], 0x0
	s_waitcnt lgkmcnt(0)
	v_add_f32_e32 v7, s0, v6
.LBB0_11:
	s_or_b32 exec_lo, exec_lo, s3
	s_lshr_b32 s0, s2, 8
	s_cmp_gt_i32 s17, 0
	s_mov_b32 s3, 0
	s_cbranch_scc1 .LBB0_13
; %bb.12:
	s_bitcmp1_b32 s0, 0
	s_waitcnt lgkmcnt(0)
	s_mov_b32 s4, 0
	s_cselect_b32 s2, -1, 0
	s_branch .LBB0_14
.LBB0_13:
	s_mov_b32 s3, -1
                                        ; implicit-def: $sgpr4
                                        ; implicit-def: $sgpr2
.LBB0_14:
	s_waitcnt lgkmcnt(0)
	v_dual_mov_b32 v8, s4 :: v_dual_mov_b32 v5, s4
	v_mbcnt_lo_u32_b32 v4, -1, 0
	s_and_not1_b32 vcc_lo, exec_lo, s3
	s_cbranch_vccnz .LBB0_39
; %bb.15:
	s_delay_alu instid0(VALU_DEP_1) | instskip(SKIP_3) | instid1(VALU_DEP_4)
	v_xor_b32_e32 v5, 16, v4
	v_add_co_u32 v2, vcc_lo, s8, v2
	v_add_co_ci_u32_e32 v3, vcc_lo, s9, v3, vcc_lo
	v_xor_b32_e32 v8, 8, v4
	v_cmp_gt_i32_e32 vcc_lo, 32, v5
	v_xor_b32_e32 v9, 4, v4
	v_xor_b32_e32 v10, 2, v4
	;; [unrolled: 1-line block ×3, first 2 shown]
	s_bitcmp1_b32 s0, 0
	v_cndmask_b32_e32 v5, v4, v5, vcc_lo
	v_cmp_gt_i32_e32 vcc_lo, 32, v8
	s_mov_b32 s3, 0
	s_cselect_b32 s2, -1, 0
	v_cndmask_b32_e32 v8, v4, v8, vcc_lo
	v_cmp_gt_i32_e32 vcc_lo, 32, v9
	v_cndmask_b32_e32 v12, v4, v9, vcc_lo
	v_cmp_gt_i32_e32 vcc_lo, 32, v10
	;; [unrolled: 2-line block ×3, first 2 shown]
	v_lshlrev_b32_e32 v10, 2, v8
	v_dual_mov_b32 v8, 0 :: v_dual_lshlrev_b32 v9, 2, v5
	v_dual_mov_b32 v5, 0 :: v_dual_cndmask_b32 v14, v4, v11
	v_lshlrev_b32_e32 v11, 2, v12
	v_lshlrev_b32_e32 v12, 2, v13
	s_delay_alu instid0(VALU_DEP_3)
	v_lshlrev_b32_e32 v13, 2, v14
	s_branch .LBB0_17
.LBB0_16:                               ;   in Loop: Header=BB0_17 Depth=1
	s_or_b32 exec_lo, exec_lo, s0
	s_and_b32 s0, s3, 31
	v_cndmask_b32_e64 v7, v7, 0xff800000, vcc_lo
	v_cmp_eq_u32_e32 vcc_lo, s0, v0
	s_add_i32 s3, s3, 1
	s_delay_alu instid0(SALU_CYCLE_1)
	s_cmp_eq_u32 s17, s3
	v_cndmask_b32_e32 v5, v5, v14, vcc_lo
	v_add_co_u32 v2, vcc_lo, v2, 4
	v_add_co_ci_u32_e32 v3, vcc_lo, 0, v3, vcc_lo
	s_cbranch_scc1 .LBB0_39
.LBB0_17:                               ; =>This Inner Loop Header: Depth=1
	ds_bpermute_b32 v19, v9, v7
	ds_bpermute_b32 v20, v9, v6
	;; [unrolled: 1-line block ×3, first 2 shown]
	s_mov_b32 s5, exec_lo
                                        ; implicit-def: $vgpr16
	s_waitcnt lgkmcnt(2)
	v_cmp_lt_f32_e64 s4, v7, v19
	v_cmpx_nlt_f32_e32 v7, v19
	s_cbranch_execz .LBB0_19
; %bb.18:                               ;   in Loop: Header=BB0_17 Depth=1
	v_cmp_eq_f32_e32 vcc_lo, v7, v19
	s_waitcnt lgkmcnt(0)
	v_cmp_lt_i32_e64 s0, v21, v0
	v_mov_b32_e32 v16, v7
	s_and_not1_b32 s4, s4, exec_lo
	s_delay_alu instid0(VALU_DEP_2) | instskip(NEXT) | instid1(SALU_CYCLE_1)
	s_and_b32 s0, vcc_lo, s0
	s_and_b32 s0, s0, exec_lo
	s_delay_alu instid0(SALU_CYCLE_1)
	s_or_b32 s4, s4, s0
.LBB0_19:                               ;   in Loop: Header=BB0_17 Depth=1
	s_or_b32 exec_lo, exec_lo, s5
	v_dual_mov_b32 v17, v6 :: v_dual_mov_b32 v18, v7
	v_dual_mov_b32 v14, v6 :: v_dual_mov_b32 v15, v0
	s_and_saveexec_b32 s0, s4
	s_cbranch_execz .LBB0_21
; %bb.20:                               ;   in Loop: Header=BB0_17 Depth=1
	s_waitcnt lgkmcnt(1)
	v_dual_mov_b32 v16, v19 :: v_dual_mov_b32 v17, v20
	s_waitcnt lgkmcnt(0)
	v_dual_mov_b32 v14, v20 :: v_dual_mov_b32 v15, v21
	v_mov_b32_e32 v18, v19
.LBB0_21:                               ;   in Loop: Header=BB0_17 Depth=1
	s_or_b32 exec_lo, exec_lo, s0
	ds_bpermute_b32 v19, v10, v16
	s_waitcnt lgkmcnt(1)
	ds_bpermute_b32 v21, v10, v17
	ds_bpermute_b32 v20, v10, v15
	s_mov_b32 s5, exec_lo
	s_waitcnt lgkmcnt(2)
	v_cmp_lt_f32_e64 s4, v18, v19
	v_cmpx_nlt_f32_e32 v18, v19
	s_cbranch_execz .LBB0_23
; %bb.22:                               ;   in Loop: Header=BB0_17 Depth=1
	v_cmp_eq_f32_e32 vcc_lo, v18, v19
	s_waitcnt lgkmcnt(0)
	v_cmp_lt_i32_e64 s0, v20, v15
	s_and_not1_b32 s4, s4, exec_lo
	s_delay_alu instid0(VALU_DEP_1) | instskip(NEXT) | instid1(SALU_CYCLE_1)
	s_and_b32 s0, vcc_lo, s0
	s_and_b32 s0, s0, exec_lo
	s_delay_alu instid0(SALU_CYCLE_1)
	s_or_b32 s4, s4, s0
.LBB0_23:                               ;   in Loop: Header=BB0_17 Depth=1
	s_or_b32 exec_lo, exec_lo, s5
	s_delay_alu instid0(VALU_DEP_2)
	s_and_saveexec_b32 s0, s4
	s_cbranch_execz .LBB0_25
; %bb.24:                               ;   in Loop: Header=BB0_17 Depth=1
	s_waitcnt lgkmcnt(1)
	v_dual_mov_b32 v16, v19 :: v_dual_mov_b32 v17, v21
	s_waitcnt lgkmcnt(0)
	v_dual_mov_b32 v14, v21 :: v_dual_mov_b32 v15, v20
	v_mov_b32_e32 v18, v19
.LBB0_25:                               ;   in Loop: Header=BB0_17 Depth=1
	s_or_b32 exec_lo, exec_lo, s0
	ds_bpermute_b32 v19, v11, v16
	s_waitcnt lgkmcnt(2)
	ds_bpermute_b32 v21, v11, v17
	s_waitcnt lgkmcnt(2)
	ds_bpermute_b32 v20, v11, v15
	s_mov_b32 s5, exec_lo
	s_waitcnt lgkmcnt(2)
	v_cmp_lt_f32_e64 s4, v18, v19
	v_cmpx_nlt_f32_e32 v18, v19
	s_cbranch_execz .LBB0_27
; %bb.26:                               ;   in Loop: Header=BB0_17 Depth=1
	v_cmp_eq_f32_e32 vcc_lo, v18, v19
	s_waitcnt lgkmcnt(0)
	v_cmp_lt_i32_e64 s0, v20, v15
	s_and_not1_b32 s4, s4, exec_lo
	s_delay_alu instid0(VALU_DEP_1) | instskip(NEXT) | instid1(SALU_CYCLE_1)
	s_and_b32 s0, vcc_lo, s0
	s_and_b32 s0, s0, exec_lo
	s_delay_alu instid0(SALU_CYCLE_1)
	s_or_b32 s4, s4, s0
.LBB0_27:                               ;   in Loop: Header=BB0_17 Depth=1
	s_or_b32 exec_lo, exec_lo, s5
	s_delay_alu instid0(VALU_DEP_2)
	s_and_saveexec_b32 s0, s4
	s_cbranch_execz .LBB0_29
; %bb.28:                               ;   in Loop: Header=BB0_17 Depth=1
	s_waitcnt lgkmcnt(1)
	v_dual_mov_b32 v16, v19 :: v_dual_mov_b32 v17, v21
	s_waitcnt lgkmcnt(0)
	v_dual_mov_b32 v14, v21 :: v_dual_mov_b32 v15, v20
	v_mov_b32_e32 v18, v19
.LBB0_29:                               ;   in Loop: Header=BB0_17 Depth=1
	s_or_b32 exec_lo, exec_lo, s0
	ds_bpermute_b32 v19, v12, v16
	s_waitcnt lgkmcnt(2)
	ds_bpermute_b32 v21, v12, v17
	s_waitcnt lgkmcnt(2)
	ds_bpermute_b32 v20, v12, v15
	s_mov_b32 s5, exec_lo
	s_waitcnt lgkmcnt(2)
	v_cmp_lt_f32_e64 s4, v18, v19
	v_cmpx_nlt_f32_e32 v18, v19
	s_cbranch_execz .LBB0_31
; %bb.30:                               ;   in Loop: Header=BB0_17 Depth=1
	v_cmp_eq_f32_e32 vcc_lo, v18, v19
	s_waitcnt lgkmcnt(0)
	v_cmp_lt_i32_e64 s0, v20, v15
	s_and_not1_b32 s4, s4, exec_lo
	s_delay_alu instid0(VALU_DEP_1) | instskip(NEXT) | instid1(SALU_CYCLE_1)
	s_and_b32 s0, vcc_lo, s0
	s_and_b32 s0, s0, exec_lo
	s_delay_alu instid0(SALU_CYCLE_1)
	s_or_b32 s4, s4, s0
.LBB0_31:                               ;   in Loop: Header=BB0_17 Depth=1
	s_or_b32 exec_lo, exec_lo, s5
	s_delay_alu instid0(VALU_DEP_2)
	s_and_saveexec_b32 s0, s4
	s_cbranch_execz .LBB0_33
; %bb.32:                               ;   in Loop: Header=BB0_17 Depth=1
	s_waitcnt lgkmcnt(1)
	v_dual_mov_b32 v16, v19 :: v_dual_mov_b32 v17, v21
	s_waitcnt lgkmcnt(0)
	v_dual_mov_b32 v14, v21 :: v_dual_mov_b32 v15, v20
	v_mov_b32_e32 v18, v19
.LBB0_33:                               ;   in Loop: Header=BB0_17 Depth=1
	s_or_b32 exec_lo, exec_lo, s0
	ds_bpermute_b32 v19, v13, v16
	ds_bpermute_b32 v17, v13, v17
	;; [unrolled: 1-line block ×3, first 2 shown]
	s_mov_b32 s5, exec_lo
	s_waitcnt lgkmcnt(2)
	v_cmp_lt_f32_e64 s4, v18, v19
	v_cmpx_nlt_f32_e32 v18, v19
	s_cbranch_execz .LBB0_35
; %bb.34:                               ;   in Loop: Header=BB0_17 Depth=1
	v_cmp_eq_f32_e32 vcc_lo, v18, v19
	s_waitcnt lgkmcnt(0)
	v_cmp_lt_i32_e64 s0, v16, v15
	s_and_not1_b32 s4, s4, exec_lo
	s_delay_alu instid0(VALU_DEP_1) | instskip(NEXT) | instid1(SALU_CYCLE_1)
	s_and_b32 s0, vcc_lo, s0
	s_and_b32 s0, s0, exec_lo
	s_delay_alu instid0(SALU_CYCLE_1)
	s_or_b32 s4, s4, s0
.LBB0_35:                               ;   in Loop: Header=BB0_17 Depth=1
	s_or_b32 exec_lo, exec_lo, s5
	s_delay_alu instid0(VALU_DEP_2)
	s_and_saveexec_b32 s0, s4
	s_cbranch_execz .LBB0_37
; %bb.36:                               ;   in Loop: Header=BB0_17 Depth=1
	s_waitcnt lgkmcnt(0)
	v_dual_mov_b32 v14, v17 :: v_dual_mov_b32 v15, v16
.LBB0_37:                               ;   in Loop: Header=BB0_17 Depth=1
	s_or_b32 exec_lo, exec_lo, s0
	s_waitcnt lgkmcnt(0)
	s_delay_alu instid0(VALU_DEP_1) | instskip(NEXT) | instid1(VALU_DEP_1)
	v_and_b32_e32 v16, 31, v15
	v_cmp_eq_u32_e32 vcc_lo, v16, v0
	s_and_saveexec_b32 s0, vcc_lo
	s_cbranch_execz .LBB0_16
; %bb.38:                               ;   in Loop: Header=BB0_17 Depth=1
	v_add_f32_e32 v16, v8, v14
	global_store_b32 v[2:3], v15, off
	v_cndmask_b32_e64 v8, v8, v16, s2
	s_branch .LBB0_16
.LBB0_39:
	s_and_b32 vcc_lo, exec_lo, s2
	s_cbranch_vccnz .LBB0_44
; %bb.40:
	v_cmp_gt_i32_e64 s0, s17, v0
	s_and_not1_b32 vcc_lo, exec_lo, s1
	s_cbranch_vccz .LBB0_45
.LBB0_41:
	v_cmp_gt_i32_e32 vcc_lo, s17, v0
	s_and_b32 exec_lo, exec_lo, vcc_lo
	s_cbranch_execz .LBB0_43
.LBB0_42:
	v_mul_lo_u32 v1, v1, s17
	v_lshlrev_b32_e32 v0, 2, v0
	s_delay_alu instid0(VALU_DEP_2) | instskip(NEXT) | instid1(VALU_DEP_1)
	v_ashrrev_i32_e32 v2, 31, v1
	v_lshlrev_b64 v[1:2], 2, v[1:2]
	s_delay_alu instid0(VALU_DEP_1) | instskip(NEXT) | instid1(VALU_DEP_2)
	v_add_co_u32 v1, vcc_lo, s6, v1
	v_add_co_ci_u32_e32 v2, vcc_lo, s7, v2, vcc_lo
	s_delay_alu instid0(VALU_DEP_2) | instskip(NEXT) | instid1(VALU_DEP_2)
	v_add_co_u32 v0, vcc_lo, v1, v0
	v_add_co_ci_u32_e32 v1, vcc_lo, 0, v2, vcc_lo
	v_mul_f32_e32 v2, s19, v5
	global_store_b32 v[0:1], v2, off
.LBB0_43:
	s_nop 0
	s_sendmsg sendmsg(MSG_DEALLOC_VGPRS)
	s_endpgm
.LBB0_44:
	v_xor_b32_e32 v2, 16, v4
	v_xor_b32_e32 v3, 8, v4
	;; [unrolled: 1-line block ×3, first 2 shown]
	s_delay_alu instid0(VALU_DEP_3) | instskip(SKIP_1) | instid1(VALU_DEP_4)
	v_cmp_gt_i32_e32 vcc_lo, 32, v2
	v_cndmask_b32_e32 v2, v4, v2, vcc_lo
	v_cmp_gt_i32_e32 vcc_lo, 32, v3
	v_cndmask_b32_e32 v3, v4, v3, vcc_lo
	;; [unrolled: 2-line block ×3, first 2 shown]
	s_delay_alu instid0(VALU_DEP_1) | instskip(NEXT) | instid1(VALU_DEP_4)
	v_lshlrev_b32_e32 v6, 2, v6
	v_lshlrev_b32_e32 v3, 2, v3
	;; [unrolled: 1-line block ×3, first 2 shown]
	ds_bpermute_b32 v2, v2, v8
	s_waitcnt lgkmcnt(0)
	v_add_f32_e32 v2, v8, v2
	ds_bpermute_b32 v3, v3, v2
	s_waitcnt lgkmcnt(0)
	v_add_f32_e32 v2, v2, v3
	ds_bpermute_b32 v3, v6, v2
	v_xor_b32_e32 v6, 2, v4
	s_delay_alu instid0(VALU_DEP_1) | instskip(SKIP_1) | instid1(VALU_DEP_1)
	v_cmp_gt_i32_e32 vcc_lo, 32, v6
	v_cndmask_b32_e32 v6, v4, v6, vcc_lo
	v_lshlrev_b32_e32 v6, 2, v6
	s_waitcnt lgkmcnt(0)
	v_add_f32_e32 v2, v2, v3
	ds_bpermute_b32 v3, v6, v2
	v_xor_b32_e32 v6, 1, v4
	s_delay_alu instid0(VALU_DEP_1) | instskip(SKIP_1) | instid1(VALU_DEP_1)
	v_cmp_gt_i32_e32 vcc_lo, 32, v6
	v_cndmask_b32_e32 v6, v4, v6, vcc_lo
	v_lshlrev_b32_e32 v6, 2, v6
	s_waitcnt lgkmcnt(0)
	v_add_f32_e32 v2, v2, v3
	ds_bpermute_b32 v3, v6, v2
	v_max_f32_e64 v6, s18, s18
	s_waitcnt lgkmcnt(0)
	v_add_f32_e32 v2, v2, v3
	s_delay_alu instid0(VALU_DEP_1) | instskip(NEXT) | instid1(VALU_DEP_1)
	v_max_f32_e32 v2, v2, v6
	v_div_scale_f32 v3, null, v2, v2, 1.0
	s_delay_alu instid0(VALU_DEP_1) | instskip(SKIP_2) | instid1(VALU_DEP_1)
	v_rcp_f32_e32 v6, v3
	s_waitcnt_depctr 0xfff
	v_fma_f32 v7, -v3, v6, 1.0
	v_fmac_f32_e32 v6, v7, v6
	v_div_scale_f32 v7, vcc_lo, 1.0, v2, 1.0
	s_delay_alu instid0(VALU_DEP_1) | instskip(NEXT) | instid1(VALU_DEP_1)
	v_mul_f32_e32 v8, v7, v6
	v_fma_f32 v9, -v3, v8, v7
	s_delay_alu instid0(VALU_DEP_1) | instskip(NEXT) | instid1(VALU_DEP_1)
	v_fmac_f32_e32 v8, v9, v6
	v_fma_f32 v3, -v3, v8, v7
	s_delay_alu instid0(VALU_DEP_1) | instskip(NEXT) | instid1(VALU_DEP_1)
	v_div_fmas_f32 v3, v3, v6, v8
	v_div_fixup_f32 v2, v3, v2, 1.0
	s_delay_alu instid0(VALU_DEP_1)
	v_mul_f32_e32 v5, v5, v2
	v_cmp_gt_i32_e64 s0, s17, v0
	s_and_not1_b32 vcc_lo, exec_lo, s1
	s_cbranch_vccnz .LBB0_41
.LBB0_45:
	v_xor_b32_e32 v3, 16, v4
	v_xor_b32_e32 v7, 8, v4
	;; [unrolled: 1-line block ×5, first 2 shown]
	v_cmp_gt_i32_e32 vcc_lo, 32, v3
	v_dual_max_f32 v2, v5, v5 :: v_dual_cndmask_b32 v3, v4, v3
	s_delay_alu instid0(VALU_DEP_1) | instskip(SKIP_1) | instid1(VALU_DEP_3)
	v_max_f32_e32 v2, 0xff800000, v2
	v_cmp_gt_i32_e32 vcc_lo, 32, v7
	v_lshlrev_b32_e32 v3, 2, v3
	s_delay_alu instid0(VALU_DEP_3)
	v_cndmask_b32_e64 v2, 0xff800000, v2, s0
	ds_bpermute_b32 v6, v3, v2
	v_cndmask_b32_e32 v7, v4, v7, vcc_lo
	v_cmp_gt_i32_e32 vcc_lo, 32, v8
	v_cndmask_b32_e32 v8, v4, v8, vcc_lo
	v_cmp_gt_i32_e32 vcc_lo, 32, v9
	;; [unrolled: 2-line block ×3, first 2 shown]
	s_delay_alu instid0(VALU_DEP_2) | instskip(SKIP_4) | instid1(VALU_DEP_2)
	v_lshlrev_b32_e32 v9, 2, v9
	v_lshlrev_b32_e32 v8, 2, v8
	s_waitcnt lgkmcnt(0)
	v_dual_max_f32 v6, v6, v6 :: v_dual_lshlrev_b32 v7, 2, v7
	v_cndmask_b32_e32 v4, v4, v10, vcc_lo
	v_max_f32_e32 v2, v2, v6
	s_delay_alu instid0(VALU_DEP_2) | instskip(SKIP_3) | instid1(VALU_DEP_1)
	v_lshlrev_b32_e32 v4, 2, v4
	ds_bpermute_b32 v6, v7, v2
	s_waitcnt lgkmcnt(0)
	v_max_f32_e32 v6, v6, v6
	v_max_f32_e32 v2, v2, v6
	ds_bpermute_b32 v6, v8, v2
	s_waitcnt lgkmcnt(0)
	v_max_f32_e32 v6, v6, v6
	s_delay_alu instid0(VALU_DEP_1) | instskip(SKIP_3) | instid1(VALU_DEP_1)
	v_max_f32_e32 v2, v2, v6
	ds_bpermute_b32 v6, v9, v2
	s_waitcnt lgkmcnt(0)
	v_max_f32_e32 v6, v6, v6
	v_max_f32_e32 v2, v2, v6
	ds_bpermute_b32 v6, v4, v2
	s_waitcnt lgkmcnt(0)
	v_max_f32_e32 v6, v6, v6
	s_delay_alu instid0(VALU_DEP_1) | instskip(NEXT) | instid1(VALU_DEP_1)
	v_max_f32_e32 v2, v2, v6
	v_sub_f32_e32 v2, v5, v2
	s_delay_alu instid0(VALU_DEP_1) | instskip(SKIP_1) | instid1(VALU_DEP_2)
	v_mul_f32_e32 v5, 0x3fb8aa3b, v2
	v_cmp_ngt_f32_e32 vcc_lo, 0xc2ce8ed0, v2
	v_fma_f32 v6, 0x3fb8aa3b, v2, -v5
	v_rndne_f32_e32 v10, v5
	s_delay_alu instid0(VALU_DEP_1) | instskip(NEXT) | instid1(VALU_DEP_1)
	v_dual_fmamk_f32 v6, v2, 0x32a5705f, v6 :: v_dual_sub_f32 v5, v5, v10
	v_add_f32_e32 v5, v5, v6
	v_cvt_i32_f32_e32 v6, v10
	s_delay_alu instid0(VALU_DEP_2) | instskip(SKIP_2) | instid1(VALU_DEP_1)
	v_exp_f32_e32 v5, v5
	s_waitcnt_depctr 0xfff
	v_ldexp_f32 v5, v5, v6
	v_cndmask_b32_e32 v5, 0, v5, vcc_lo
	v_cmp_nlt_f32_e32 vcc_lo, 0x42b17218, v2
	s_delay_alu instid0(VALU_DEP_2) | instskip(NEXT) | instid1(VALU_DEP_1)
	v_cndmask_b32_e32 v2, 0x7f800000, v5, vcc_lo
	v_cndmask_b32_e64 v5, 0, v2, s0
	ds_bpermute_b32 v3, v3, v5
	s_waitcnt lgkmcnt(0)
	v_add_f32_e32 v3, v5, v3
	ds_bpermute_b32 v5, v7, v3
	s_waitcnt lgkmcnt(0)
	v_add_f32_e32 v3, v3, v5
	;; [unrolled: 3-line block ×4, first 2 shown]
	v_mov_b32_e32 v5, 0
	ds_bpermute_b32 v4, v4, v3
	s_and_saveexec_b32 s1, s0
	s_cbranch_execz .LBB0_47
; %bb.46:
	s_waitcnt lgkmcnt(0)
	v_add_f32_e32 v3, v3, v4
	s_delay_alu instid0(VALU_DEP_1) | instskip(NEXT) | instid1(VALU_DEP_1)
	v_div_scale_f32 v4, null, v3, v3, 1.0
	v_rcp_f32_e32 v5, v4
	s_waitcnt_depctr 0xfff
	v_fma_f32 v6, -v4, v5, 1.0
	s_delay_alu instid0(VALU_DEP_1) | instskip(SKIP_1) | instid1(VALU_DEP_1)
	v_fmac_f32_e32 v5, v6, v5
	v_div_scale_f32 v6, vcc_lo, 1.0, v3, 1.0
	v_mul_f32_e32 v7, v6, v5
	s_delay_alu instid0(VALU_DEP_1) | instskip(NEXT) | instid1(VALU_DEP_1)
	v_fma_f32 v8, -v4, v7, v6
	v_fmac_f32_e32 v7, v8, v5
	s_delay_alu instid0(VALU_DEP_1) | instskip(NEXT) | instid1(VALU_DEP_1)
	v_fma_f32 v4, -v4, v7, v6
	v_div_fmas_f32 v4, v4, v5, v7
	s_delay_alu instid0(VALU_DEP_1) | instskip(NEXT) | instid1(VALU_DEP_1)
	v_div_fixup_f32 v3, v4, v3, 1.0
	v_mul_f32_e32 v5, v2, v3
.LBB0_47:
	s_or_b32 exec_lo, exec_lo, s1
	v_cmp_gt_i32_e32 vcc_lo, s17, v0
	s_and_b32 exec_lo, exec_lo, vcc_lo
	s_cbranch_execnz .LBB0_42
	s_branch .LBB0_43
	.section	.rodata,"a",@progbits
	.p2align	6, 0x0
	.amdhsa_kernel _Z13topk_moe_cudaILi1ELb1EEvPKfPfPiS2_iiff15topk_moe_config
		.amdhsa_group_segment_fixed_size 0
		.amdhsa_private_segment_fixed_size 0
		.amdhsa_kernarg_size 312
		.amdhsa_user_sgpr_count 15
		.amdhsa_user_sgpr_dispatch_ptr 0
		.amdhsa_user_sgpr_queue_ptr 0
		.amdhsa_user_sgpr_kernarg_segment_ptr 1
		.amdhsa_user_sgpr_dispatch_id 0
		.amdhsa_user_sgpr_private_segment_size 0
		.amdhsa_wavefront_size32 1
		.amdhsa_uses_dynamic_stack 0
		.amdhsa_enable_private_segment 0
		.amdhsa_system_sgpr_workgroup_id_x 1
		.amdhsa_system_sgpr_workgroup_id_y 0
		.amdhsa_system_sgpr_workgroup_id_z 0
		.amdhsa_system_sgpr_workgroup_info 0
		.amdhsa_system_vgpr_workitem_id 1
		.amdhsa_next_free_vgpr 22
		.amdhsa_next_free_sgpr 20
		.amdhsa_reserve_vcc 1
		.amdhsa_float_round_mode_32 0
		.amdhsa_float_round_mode_16_64 0
		.amdhsa_float_denorm_mode_32 3
		.amdhsa_float_denorm_mode_16_64 3
		.amdhsa_dx10_clamp 1
		.amdhsa_ieee_mode 1
		.amdhsa_fp16_overflow 0
		.amdhsa_workgroup_processor_mode 1
		.amdhsa_memory_ordered 1
		.amdhsa_forward_progress 0
		.amdhsa_shared_vgpr_count 0
		.amdhsa_exception_fp_ieee_invalid_op 0
		.amdhsa_exception_fp_denorm_src 0
		.amdhsa_exception_fp_ieee_div_zero 0
		.amdhsa_exception_fp_ieee_overflow 0
		.amdhsa_exception_fp_ieee_underflow 0
		.amdhsa_exception_fp_ieee_inexact 0
		.amdhsa_exception_int_div_zero 0
	.end_amdhsa_kernel
	.section	.text._Z13topk_moe_cudaILi1ELb1EEvPKfPfPiS2_iiff15topk_moe_config,"axG",@progbits,_Z13topk_moe_cudaILi1ELb1EEvPKfPfPiS2_iiff15topk_moe_config,comdat
.Lfunc_end0:
	.size	_Z13topk_moe_cudaILi1ELb1EEvPKfPfPiS2_iiff15topk_moe_config, .Lfunc_end0-_Z13topk_moe_cudaILi1ELb1EEvPKfPfPiS2_iiff15topk_moe_config
                                        ; -- End function
	.section	.AMDGPU.csdata,"",@progbits
; Kernel info:
; codeLenInByte = 3064
; NumSgprs: 22
; NumVgprs: 22
; ScratchSize: 0
; MemoryBound: 0
; FloatMode: 240
; IeeeMode: 1
; LDSByteSize: 0 bytes/workgroup (compile time only)
; SGPRBlocks: 2
; VGPRBlocks: 2
; NumSGPRsForWavesPerEU: 22
; NumVGPRsForWavesPerEU: 22
; Occupancy: 16
; WaveLimiterHint : 0
; COMPUTE_PGM_RSRC2:SCRATCH_EN: 0
; COMPUTE_PGM_RSRC2:USER_SGPR: 15
; COMPUTE_PGM_RSRC2:TRAP_HANDLER: 0
; COMPUTE_PGM_RSRC2:TGID_X_EN: 1
; COMPUTE_PGM_RSRC2:TGID_Y_EN: 0
; COMPUTE_PGM_RSRC2:TGID_Z_EN: 0
; COMPUTE_PGM_RSRC2:TIDIG_COMP_CNT: 1
	.section	.text._Z13topk_moe_cudaILi2ELb1EEvPKfPfPiS2_iiff15topk_moe_config,"axG",@progbits,_Z13topk_moe_cudaILi2ELb1EEvPKfPfPiS2_iiff15topk_moe_config,comdat
	.protected	_Z13topk_moe_cudaILi2ELb1EEvPKfPfPiS2_iiff15topk_moe_config ; -- Begin function _Z13topk_moe_cudaILi2ELb1EEvPKfPfPiS2_iiff15topk_moe_config
	.globl	_Z13topk_moe_cudaILi2ELb1EEvPKfPfPiS2_iiff15topk_moe_config
	.p2align	8
	.type	_Z13topk_moe_cudaILi2ELb1EEvPKfPfPiS2_iiff15topk_moe_config,@function
_Z13topk_moe_cudaILi2ELb1EEvPKfPfPiS2_iiff15topk_moe_config: ; @_Z13topk_moe_cudaILi2ELb1EEvPKfPfPiS2_iiff15topk_moe_config
; %bb.0:
	s_clause 0x1
	s_load_b32 s2, s[0:1], 0x44
	s_load_b128 s[16:19], s[0:1], 0x20
	v_bfe_u32 v3, v0, 10, 10
	s_waitcnt lgkmcnt(0)
	s_lshr_b32 s2, s2, 16
	s_delay_alu instid0(VALU_DEP_1) | instid1(SALU_CYCLE_1)
	v_mad_u64_u32 v[1:2], null, s15, s2, v[3:4]
	s_mov_b32 s2, exec_lo
	s_delay_alu instid0(VALU_DEP_1)
	v_cmpx_gt_i32_e64 s16, v1
	s_cbranch_execz .LBB1_43
; %bb.1:
	v_mov_b32_e32 v2, 0
	s_load_b256 s[4:11], s[0:1], 0x0
	s_clause 0x1
	global_load_u16 v3, v2, s[0:1] offset:48
	global_load_u8 v6, v2, s[0:1] offset:50
	v_mov_b32_e32 v5, 0xff800000
	s_waitcnt vmcnt(1)
	v_lshrrev_b32_e32 v2, 8, v3
	v_and_b32_e32 v3, 0xff, v3
	s_waitcnt vmcnt(0)
	v_readfirstlane_b32 s2, v6
	s_delay_alu instid0(VALU_DEP_3) | instskip(SKIP_1) | instid1(VALU_DEP_3)
	v_lshlrev_b16 v4, 8, v2
	v_lshlrev_b32_e32 v2, 1, v1
	s_lshl_b32 s2, s2, 16
	s_delay_alu instid0(VALU_DEP_2) | instskip(NEXT) | instid1(VALU_DEP_2)
	v_or_b32_e32 v7, v3, v4
	v_ashrrev_i32_e32 v3, 31, v2
	v_and_b32_e32 v4, 0x3ff, v0
	s_delay_alu instid0(VALU_DEP_3) | instskip(NEXT) | instid1(VALU_DEP_3)
	v_readfirstlane_b32 s1, v7
	v_lshlrev_b64 v[2:3], 2, v[2:3]
	s_delay_alu instid0(VALU_DEP_3) | instskip(SKIP_1) | instid1(VALU_DEP_4)
	v_cmp_gt_u32_e64 s0, 2, v4
	v_lshlrev_b32_e32 v0, 2, v4
	s_and_b32 s1, 0xffff, s1
	s_delay_alu instid0(SALU_CYCLE_1) | instskip(NEXT) | instid1(VALU_DEP_2)
	s_or_b32 s2, s1, s2
	s_and_saveexec_b32 s1, s0
	s_cbranch_execz .LBB1_3
; %bb.2:
	s_waitcnt lgkmcnt(0)
	v_add_co_u32 v5, vcc_lo, s4, v2
	v_add_co_ci_u32_e32 v6, vcc_lo, s5, v3, vcc_lo
	s_delay_alu instid0(VALU_DEP_2) | instskip(NEXT) | instid1(VALU_DEP_2)
	v_add_co_u32 v5, vcc_lo, v5, v0
	v_add_co_ci_u32_e32 v6, vcc_lo, 0, v6, vcc_lo
	global_load_b32 v5, v[5:6], off
.LBB1_3:
	s_or_b32 exec_lo, exec_lo, s1
	s_bitcmp1_b32 s2, 16
	s_cselect_b32 s1, -1, 0
	s_delay_alu instid0(SALU_CYCLE_1)
	s_and_b32 vcc_lo, exec_lo, s1
	s_cbranch_vccnz .LBB1_9
; %bb.4:
	s_bitcmp0_b32 s2, 0
	s_mov_b32 s3, 0
	s_cbranch_scc0 .LBB1_6
; %bb.5:
	v_mbcnt_lo_u32_b32 v6, -1, 0
	s_delay_alu instid0(VALU_DEP_1)
	v_xor_b32_e32 v7, 16, v6
	v_xor_b32_e32 v10, 8, v6
	;; [unrolled: 1-line block ×5, first 2 shown]
	v_cmp_gt_i32_e32 vcc_lo, 32, v7
	s_waitcnt vmcnt(0)
	v_dual_max_f32 v8, v5, v5 :: v_dual_cndmask_b32 v7, v6, v7
	s_delay_alu instid0(VALU_DEP_1) | instskip(SKIP_1) | instid1(VALU_DEP_3)
	v_max_f32_e32 v8, 0xff800000, v8
	v_cmp_gt_i32_e32 vcc_lo, 32, v10
	v_lshlrev_b32_e32 v7, 2, v7
	ds_bpermute_b32 v9, v7, v8
	v_cndmask_b32_e32 v10, v6, v10, vcc_lo
	v_cmp_gt_i32_e32 vcc_lo, 32, v11
	v_cndmask_b32_e32 v11, v6, v11, vcc_lo
	v_cmp_gt_i32_e32 vcc_lo, 32, v12
	s_delay_alu instid0(VALU_DEP_2) | instskip(SKIP_1) | instid1(VALU_DEP_2)
	v_dual_cndmask_b32 v12, v6, v12 :: v_dual_lshlrev_b32 v11, 2, v11
	v_cmp_gt_i32_e32 vcc_lo, 32, v13
	v_lshlrev_b32_e32 v12, 2, v12
	v_cndmask_b32_e32 v6, v6, v13, vcc_lo
	s_waitcnt lgkmcnt(0)
	v_dual_max_f32 v9, v9, v9 :: v_dual_lshlrev_b32 v10, 2, v10
	s_delay_alu instid0(VALU_DEP_2) | instskip(NEXT) | instid1(VALU_DEP_2)
	v_lshlrev_b32_e32 v6, 2, v6
	v_max_f32_e32 v8, v8, v9
	ds_bpermute_b32 v9, v10, v8
	s_waitcnt lgkmcnt(0)
	v_max_f32_e32 v9, v9, v9
	s_delay_alu instid0(VALU_DEP_1) | instskip(SKIP_3) | instid1(VALU_DEP_1)
	v_max_f32_e32 v8, v8, v9
	ds_bpermute_b32 v9, v11, v8
	s_waitcnt lgkmcnt(0)
	v_max_f32_e32 v9, v9, v9
	v_max_f32_e32 v8, v8, v9
	ds_bpermute_b32 v9, v12, v8
	s_waitcnt lgkmcnt(0)
	v_max_f32_e32 v9, v9, v9
	s_delay_alu instid0(VALU_DEP_1) | instskip(SKIP_3) | instid1(VALU_DEP_1)
	v_max_f32_e32 v8, v8, v9
	ds_bpermute_b32 v9, v6, v8
	s_waitcnt lgkmcnt(0)
	v_max_f32_e32 v9, v9, v9
	v_max_f32_e32 v8, v8, v9
	s_delay_alu instid0(VALU_DEP_1) | instskip(NEXT) | instid1(VALU_DEP_1)
	v_sub_f32_e32 v8, v5, v8
	v_mul_f32_e32 v9, 0x3fb8aa3b, v8
	v_cmp_ngt_f32_e32 vcc_lo, 0xc2ce8ed0, v8
	s_delay_alu instid0(VALU_DEP_2) | instskip(SKIP_1) | instid1(VALU_DEP_2)
	v_fma_f32 v13, 0x3fb8aa3b, v8, -v9
	v_rndne_f32_e32 v14, v9
	v_fmamk_f32 v13, v8, 0x32a5705f, v13
	s_delay_alu instid0(VALU_DEP_2) | instskip(NEXT) | instid1(VALU_DEP_1)
	v_sub_f32_e32 v9, v9, v14
	v_add_f32_e32 v9, v9, v13
	v_cvt_i32_f32_e32 v13, v14
	s_delay_alu instid0(VALU_DEP_2) | instskip(SKIP_2) | instid1(VALU_DEP_1)
	v_exp_f32_e32 v9, v9
	s_waitcnt_depctr 0xfff
	v_ldexp_f32 v9, v9, v13
	v_cndmask_b32_e32 v9, 0, v9, vcc_lo
	v_cmp_nlt_f32_e32 vcc_lo, 0x42b17218, v8
	s_delay_alu instid0(VALU_DEP_2)
	v_cndmask_b32_e32 v8, 0x7f800000, v9, vcc_lo
	ds_bpermute_b32 v7, v7, v8
	s_waitcnt lgkmcnt(0)
	v_add_f32_e32 v7, v8, v7
	ds_bpermute_b32 v9, v10, v7
	s_waitcnt lgkmcnt(0)
	v_add_f32_e32 v7, v7, v9
	;; [unrolled: 3-line block ×5, first 2 shown]
	s_delay_alu instid0(VALU_DEP_1) | instskip(NEXT) | instid1(VALU_DEP_1)
	v_div_scale_f32 v7, null, v6, v6, 1.0
	v_rcp_f32_e32 v9, v7
	s_waitcnt_depctr 0xfff
	v_fma_f32 v10, -v7, v9, 1.0
	s_delay_alu instid0(VALU_DEP_1) | instskip(SKIP_1) | instid1(VALU_DEP_1)
	v_fmac_f32_e32 v9, v10, v9
	v_div_scale_f32 v10, vcc_lo, 1.0, v6, 1.0
	v_mul_f32_e32 v11, v10, v9
	s_delay_alu instid0(VALU_DEP_1) | instskip(NEXT) | instid1(VALU_DEP_1)
	v_fma_f32 v12, -v7, v11, v10
	v_fmac_f32_e32 v11, v12, v9
	s_delay_alu instid0(VALU_DEP_1) | instskip(NEXT) | instid1(VALU_DEP_1)
	v_fma_f32 v7, -v7, v11, v10
	v_div_fmas_f32 v7, v7, v9, v11
	s_delay_alu instid0(VALU_DEP_1) | instskip(NEXT) | instid1(VALU_DEP_1)
	v_div_fixup_f32 v6, v7, v6, 1.0
	v_mul_f32_e32 v6, v8, v6
	s_and_not1_b32 vcc_lo, exec_lo, s3
	s_cbranch_vccz .LBB1_7
	s_branch .LBB1_8
.LBB1_6:
                                        ; implicit-def: $vgpr6
.LBB1_7:
	s_waitcnt vmcnt(0)
	v_mul_f32_e32 v6, 0xbfb8aa3b, v5
	v_cmp_nlt_f32_e32 vcc_lo, 0x42ce8ed0, v5
	s_delay_alu instid0(VALU_DEP_2) | instskip(SKIP_1) | instid1(VALU_DEP_2)
	v_rndne_f32_e32 v7, v6
	v_fma_f32 v8, 0xbfb8aa3b, v5, -v6
	v_sub_f32_e32 v6, v6, v7
	s_delay_alu instid0(VALU_DEP_2) | instskip(SKIP_1) | instid1(VALU_DEP_2)
	v_fmamk_f32 v8, v5, 0xb2a5705f, v8
	v_cvt_i32_f32_e32 v7, v7
	v_add_f32_e32 v6, v6, v8
	s_delay_alu instid0(VALU_DEP_1) | instskip(SKIP_2) | instid1(VALU_DEP_1)
	v_exp_f32_e32 v6, v6
	s_waitcnt_depctr 0xfff
	v_ldexp_f32 v6, v6, v7
	v_cndmask_b32_e32 v6, 0, v6, vcc_lo
	v_cmp_ngt_f32_e32 vcc_lo, 0xc2b17218, v5
	s_delay_alu instid0(VALU_DEP_2) | instskip(NEXT) | instid1(VALU_DEP_1)
	v_cndmask_b32_e32 v5, 0x7f800000, v6, vcc_lo
	v_add_f32_e32 v5, 1.0, v5
	s_delay_alu instid0(VALU_DEP_1) | instskip(NEXT) | instid1(VALU_DEP_1)
	v_div_scale_f32 v6, null, v5, v5, 1.0
	v_rcp_f32_e32 v7, v6
	s_waitcnt_depctr 0xfff
	v_fma_f32 v8, -v6, v7, 1.0
	s_delay_alu instid0(VALU_DEP_1) | instskip(SKIP_1) | instid1(VALU_DEP_1)
	v_fmac_f32_e32 v7, v8, v7
	v_div_scale_f32 v8, vcc_lo, 1.0, v5, 1.0
	v_mul_f32_e32 v9, v8, v7
	s_delay_alu instid0(VALU_DEP_1) | instskip(NEXT) | instid1(VALU_DEP_1)
	v_fma_f32 v10, -v6, v9, v8
	v_fmac_f32_e32 v9, v10, v7
	s_delay_alu instid0(VALU_DEP_1) | instskip(NEXT) | instid1(VALU_DEP_1)
	v_fma_f32 v6, -v6, v9, v8
	v_div_fmas_f32 v6, v6, v7, v9
	s_delay_alu instid0(VALU_DEP_1)
	v_div_fixup_f32 v6, v6, v5, 1.0
.LBB1_8:
	s_waitcnt vmcnt(0)
	s_delay_alu instid0(VALU_DEP_1)
	v_mov_b32_e32 v5, v6
.LBB1_9:
	s_waitcnt vmcnt(0)
	s_delay_alu instid0(VALU_DEP_1)
	v_cmp_o_f32_e32 vcc_lo, v5, v5
	v_mov_b32_e32 v8, 0xff800000
	v_cndmask_b32_e32 v7, 0xff7fffff, v5, vcc_lo
	s_and_saveexec_b32 s3, s0
	s_cbranch_execz .LBB1_11
; %bb.10:
	s_waitcnt lgkmcnt(0)
	global_load_b32 v5, v0, s[10:11]
	s_waitcnt vmcnt(0)
	v_add_f32_e32 v8, v7, v5
.LBB1_11:
	s_or_b32 exec_lo, exec_lo, s3
	s_lshr_b32 s0, s2, 8
	s_cmp_gt_i32 s17, 0
	s_mov_b32 s3, 0
	s_cbranch_scc1 .LBB1_13
; %bb.12:
	s_bitcmp1_b32 s0, 0
	s_waitcnt lgkmcnt(0)
	s_mov_b32 s4, 0
	s_cselect_b32 s2, -1, 0
	s_branch .LBB1_14
.LBB1_13:
	s_mov_b32 s3, -1
                                        ; implicit-def: $sgpr4
                                        ; implicit-def: $sgpr2
.LBB1_14:
	s_waitcnt lgkmcnt(0)
	v_dual_mov_b32 v9, s4 :: v_dual_mov_b32 v6, s4
	v_mbcnt_lo_u32_b32 v5, -1, 0
	s_and_not1_b32 vcc_lo, exec_lo, s3
	s_cbranch_vccnz .LBB1_39
; %bb.15:
	s_delay_alu instid0(VALU_DEP_1) | instskip(SKIP_3) | instid1(VALU_DEP_4)
	v_xor_b32_e32 v6, 16, v5
	v_add_co_u32 v2, vcc_lo, s8, v2
	v_add_co_ci_u32_e32 v3, vcc_lo, s9, v3, vcc_lo
	v_xor_b32_e32 v9, 8, v5
	v_cmp_gt_i32_e32 vcc_lo, 32, v6
	v_xor_b32_e32 v10, 4, v5
	v_xor_b32_e32 v11, 2, v5
	;; [unrolled: 1-line block ×3, first 2 shown]
	s_bitcmp1_b32 s0, 0
	v_cndmask_b32_e32 v6, v5, v6, vcc_lo
	v_cmp_gt_i32_e32 vcc_lo, 32, v9
	s_mov_b32 s3, 0
	s_cselect_b32 s2, -1, 0
	v_cndmask_b32_e32 v9, v5, v9, vcc_lo
	v_cmp_gt_i32_e32 vcc_lo, 32, v10
	v_cndmask_b32_e32 v13, v5, v10, vcc_lo
	v_cmp_gt_i32_e32 vcc_lo, 32, v11
	;; [unrolled: 2-line block ×3, first 2 shown]
	v_lshlrev_b32_e32 v11, 2, v9
	v_dual_mov_b32 v9, 0 :: v_dual_lshlrev_b32 v10, 2, v6
	v_dual_mov_b32 v6, 0 :: v_dual_cndmask_b32 v15, v5, v12
	v_lshlrev_b32_e32 v12, 2, v13
	v_lshlrev_b32_e32 v13, 2, v14
	s_delay_alu instid0(VALU_DEP_3)
	v_lshlrev_b32_e32 v14, 2, v15
	s_branch .LBB1_17
.LBB1_16:                               ;   in Loop: Header=BB1_17 Depth=1
	s_or_b32 exec_lo, exec_lo, s0
	s_and_b32 s0, s3, 31
	v_cndmask_b32_e64 v8, v8, 0xff800000, vcc_lo
	v_cmp_eq_u32_e32 vcc_lo, s0, v4
	s_add_i32 s3, s3, 1
	s_delay_alu instid0(SALU_CYCLE_1)
	s_cmp_eq_u32 s17, s3
	v_cndmask_b32_e32 v6, v6, v15, vcc_lo
	v_add_co_u32 v2, vcc_lo, v2, 4
	v_add_co_ci_u32_e32 v3, vcc_lo, 0, v3, vcc_lo
	s_cbranch_scc1 .LBB1_39
.LBB1_17:                               ; =>This Inner Loop Header: Depth=1
	ds_bpermute_b32 v20, v10, v8
	ds_bpermute_b32 v21, v10, v7
	;; [unrolled: 1-line block ×3, first 2 shown]
	s_mov_b32 s5, exec_lo
                                        ; implicit-def: $vgpr17
	s_waitcnt lgkmcnt(2)
	v_cmp_lt_f32_e64 s4, v8, v20
	v_cmpx_nlt_f32_e32 v8, v20
	s_cbranch_execz .LBB1_19
; %bb.18:                               ;   in Loop: Header=BB1_17 Depth=1
	v_cmp_eq_f32_e32 vcc_lo, v8, v20
	s_waitcnt lgkmcnt(0)
	v_cmp_lt_i32_e64 s0, v22, v4
	v_mov_b32_e32 v17, v8
	s_and_not1_b32 s4, s4, exec_lo
	s_delay_alu instid0(VALU_DEP_2) | instskip(NEXT) | instid1(SALU_CYCLE_1)
	s_and_b32 s0, vcc_lo, s0
	s_and_b32 s0, s0, exec_lo
	s_delay_alu instid0(SALU_CYCLE_1)
	s_or_b32 s4, s4, s0
.LBB1_19:                               ;   in Loop: Header=BB1_17 Depth=1
	s_or_b32 exec_lo, exec_lo, s5
	v_dual_mov_b32 v18, v7 :: v_dual_mov_b32 v19, v8
	v_dual_mov_b32 v15, v7 :: v_dual_mov_b32 v16, v4
	s_and_saveexec_b32 s0, s4
	s_cbranch_execz .LBB1_21
; %bb.20:                               ;   in Loop: Header=BB1_17 Depth=1
	s_waitcnt lgkmcnt(1)
	v_dual_mov_b32 v17, v20 :: v_dual_mov_b32 v18, v21
	s_waitcnt lgkmcnt(0)
	v_dual_mov_b32 v15, v21 :: v_dual_mov_b32 v16, v22
	v_mov_b32_e32 v19, v20
.LBB1_21:                               ;   in Loop: Header=BB1_17 Depth=1
	s_or_b32 exec_lo, exec_lo, s0
	ds_bpermute_b32 v20, v11, v17
	s_waitcnt lgkmcnt(1)
	ds_bpermute_b32 v22, v11, v18
	ds_bpermute_b32 v21, v11, v16
	s_mov_b32 s5, exec_lo
	s_waitcnt lgkmcnt(2)
	v_cmp_lt_f32_e64 s4, v19, v20
	v_cmpx_nlt_f32_e32 v19, v20
	s_cbranch_execz .LBB1_23
; %bb.22:                               ;   in Loop: Header=BB1_17 Depth=1
	v_cmp_eq_f32_e32 vcc_lo, v19, v20
	s_waitcnt lgkmcnt(0)
	v_cmp_lt_i32_e64 s0, v21, v16
	s_and_not1_b32 s4, s4, exec_lo
	s_delay_alu instid0(VALU_DEP_1) | instskip(NEXT) | instid1(SALU_CYCLE_1)
	s_and_b32 s0, vcc_lo, s0
	s_and_b32 s0, s0, exec_lo
	s_delay_alu instid0(SALU_CYCLE_1)
	s_or_b32 s4, s4, s0
.LBB1_23:                               ;   in Loop: Header=BB1_17 Depth=1
	s_or_b32 exec_lo, exec_lo, s5
	s_delay_alu instid0(VALU_DEP_2)
	s_and_saveexec_b32 s0, s4
	s_cbranch_execz .LBB1_25
; %bb.24:                               ;   in Loop: Header=BB1_17 Depth=1
	s_waitcnt lgkmcnt(1)
	v_dual_mov_b32 v17, v20 :: v_dual_mov_b32 v18, v22
	s_waitcnt lgkmcnt(0)
	v_dual_mov_b32 v15, v22 :: v_dual_mov_b32 v16, v21
	v_mov_b32_e32 v19, v20
.LBB1_25:                               ;   in Loop: Header=BB1_17 Depth=1
	s_or_b32 exec_lo, exec_lo, s0
	ds_bpermute_b32 v20, v12, v17
	s_waitcnt lgkmcnt(2)
	ds_bpermute_b32 v22, v12, v18
	s_waitcnt lgkmcnt(2)
	ds_bpermute_b32 v21, v12, v16
	s_mov_b32 s5, exec_lo
	s_waitcnt lgkmcnt(2)
	v_cmp_lt_f32_e64 s4, v19, v20
	v_cmpx_nlt_f32_e32 v19, v20
	s_cbranch_execz .LBB1_27
; %bb.26:                               ;   in Loop: Header=BB1_17 Depth=1
	v_cmp_eq_f32_e32 vcc_lo, v19, v20
	s_waitcnt lgkmcnt(0)
	v_cmp_lt_i32_e64 s0, v21, v16
	s_and_not1_b32 s4, s4, exec_lo
	s_delay_alu instid0(VALU_DEP_1) | instskip(NEXT) | instid1(SALU_CYCLE_1)
	s_and_b32 s0, vcc_lo, s0
	s_and_b32 s0, s0, exec_lo
	s_delay_alu instid0(SALU_CYCLE_1)
	s_or_b32 s4, s4, s0
.LBB1_27:                               ;   in Loop: Header=BB1_17 Depth=1
	s_or_b32 exec_lo, exec_lo, s5
	s_delay_alu instid0(VALU_DEP_2)
	s_and_saveexec_b32 s0, s4
	s_cbranch_execz .LBB1_29
; %bb.28:                               ;   in Loop: Header=BB1_17 Depth=1
	s_waitcnt lgkmcnt(1)
	v_dual_mov_b32 v17, v20 :: v_dual_mov_b32 v18, v22
	s_waitcnt lgkmcnt(0)
	v_dual_mov_b32 v15, v22 :: v_dual_mov_b32 v16, v21
	v_mov_b32_e32 v19, v20
.LBB1_29:                               ;   in Loop: Header=BB1_17 Depth=1
	s_or_b32 exec_lo, exec_lo, s0
	ds_bpermute_b32 v20, v13, v17
	s_waitcnt lgkmcnt(2)
	ds_bpermute_b32 v22, v13, v18
	s_waitcnt lgkmcnt(2)
	ds_bpermute_b32 v21, v13, v16
	s_mov_b32 s5, exec_lo
	s_waitcnt lgkmcnt(2)
	v_cmp_lt_f32_e64 s4, v19, v20
	v_cmpx_nlt_f32_e32 v19, v20
	s_cbranch_execz .LBB1_31
; %bb.30:                               ;   in Loop: Header=BB1_17 Depth=1
	v_cmp_eq_f32_e32 vcc_lo, v19, v20
	s_waitcnt lgkmcnt(0)
	v_cmp_lt_i32_e64 s0, v21, v16
	s_and_not1_b32 s4, s4, exec_lo
	s_delay_alu instid0(VALU_DEP_1) | instskip(NEXT) | instid1(SALU_CYCLE_1)
	s_and_b32 s0, vcc_lo, s0
	s_and_b32 s0, s0, exec_lo
	s_delay_alu instid0(SALU_CYCLE_1)
	s_or_b32 s4, s4, s0
.LBB1_31:                               ;   in Loop: Header=BB1_17 Depth=1
	s_or_b32 exec_lo, exec_lo, s5
	s_delay_alu instid0(VALU_DEP_2)
	s_and_saveexec_b32 s0, s4
	s_cbranch_execz .LBB1_33
; %bb.32:                               ;   in Loop: Header=BB1_17 Depth=1
	s_waitcnt lgkmcnt(1)
	v_dual_mov_b32 v17, v20 :: v_dual_mov_b32 v18, v22
	s_waitcnt lgkmcnt(0)
	v_dual_mov_b32 v15, v22 :: v_dual_mov_b32 v16, v21
	v_mov_b32_e32 v19, v20
.LBB1_33:                               ;   in Loop: Header=BB1_17 Depth=1
	s_or_b32 exec_lo, exec_lo, s0
	ds_bpermute_b32 v20, v14, v17
	ds_bpermute_b32 v18, v14, v18
	;; [unrolled: 1-line block ×3, first 2 shown]
	s_mov_b32 s5, exec_lo
	s_waitcnt lgkmcnt(2)
	v_cmp_lt_f32_e64 s4, v19, v20
	v_cmpx_nlt_f32_e32 v19, v20
	s_cbranch_execz .LBB1_35
; %bb.34:                               ;   in Loop: Header=BB1_17 Depth=1
	v_cmp_eq_f32_e32 vcc_lo, v19, v20
	s_waitcnt lgkmcnt(0)
	v_cmp_lt_i32_e64 s0, v17, v16
	s_and_not1_b32 s4, s4, exec_lo
	s_delay_alu instid0(VALU_DEP_1) | instskip(NEXT) | instid1(SALU_CYCLE_1)
	s_and_b32 s0, vcc_lo, s0
	s_and_b32 s0, s0, exec_lo
	s_delay_alu instid0(SALU_CYCLE_1)
	s_or_b32 s4, s4, s0
.LBB1_35:                               ;   in Loop: Header=BB1_17 Depth=1
	s_or_b32 exec_lo, exec_lo, s5
	s_delay_alu instid0(VALU_DEP_2)
	s_and_saveexec_b32 s0, s4
	s_cbranch_execz .LBB1_37
; %bb.36:                               ;   in Loop: Header=BB1_17 Depth=1
	s_waitcnt lgkmcnt(0)
	v_dual_mov_b32 v15, v18 :: v_dual_mov_b32 v16, v17
.LBB1_37:                               ;   in Loop: Header=BB1_17 Depth=1
	s_or_b32 exec_lo, exec_lo, s0
	s_waitcnt lgkmcnt(0)
	s_delay_alu instid0(VALU_DEP_1) | instskip(NEXT) | instid1(VALU_DEP_1)
	v_and_b32_e32 v17, 31, v16
	v_cmp_eq_u32_e32 vcc_lo, v17, v4
	s_and_saveexec_b32 s0, vcc_lo
	s_cbranch_execz .LBB1_16
; %bb.38:                               ;   in Loop: Header=BB1_17 Depth=1
	v_add_f32_e32 v17, v9, v15
	global_store_b32 v[2:3], v16, off
	v_cndmask_b32_e64 v9, v9, v17, s2
	s_branch .LBB1_16
.LBB1_39:
	s_and_b32 vcc_lo, exec_lo, s2
	s_cbranch_vccnz .LBB1_44
; %bb.40:
	v_cmp_gt_i32_e64 s0, s17, v4
	s_and_not1_b32 vcc_lo, exec_lo, s1
	s_cbranch_vccz .LBB1_45
.LBB1_41:
	v_cmp_gt_i32_e32 vcc_lo, s17, v4
	s_and_b32 exec_lo, exec_lo, vcc_lo
	s_cbranch_execz .LBB1_43
.LBB1_42:
	v_mul_lo_u32 v1, v1, s17
	s_delay_alu instid0(VALU_DEP_1) | instskip(NEXT) | instid1(VALU_DEP_1)
	v_ashrrev_i32_e32 v2, 31, v1
	v_lshlrev_b64 v[1:2], 2, v[1:2]
	s_delay_alu instid0(VALU_DEP_1) | instskip(NEXT) | instid1(VALU_DEP_2)
	v_add_co_u32 v1, vcc_lo, s6, v1
	v_add_co_ci_u32_e32 v2, vcc_lo, s7, v2, vcc_lo
	s_delay_alu instid0(VALU_DEP_2) | instskip(NEXT) | instid1(VALU_DEP_2)
	v_add_co_u32 v0, vcc_lo, v1, v0
	v_add_co_ci_u32_e32 v1, vcc_lo, 0, v2, vcc_lo
	v_mul_f32_e32 v2, s19, v6
	global_store_b32 v[0:1], v2, off
.LBB1_43:
	s_nop 0
	s_sendmsg sendmsg(MSG_DEALLOC_VGPRS)
	s_endpgm
.LBB1_44:
	v_xor_b32_e32 v2, 16, v5
	v_xor_b32_e32 v3, 8, v5
	;; [unrolled: 1-line block ×3, first 2 shown]
	s_delay_alu instid0(VALU_DEP_3) | instskip(SKIP_1) | instid1(VALU_DEP_4)
	v_cmp_gt_i32_e32 vcc_lo, 32, v2
	v_cndmask_b32_e32 v2, v5, v2, vcc_lo
	v_cmp_gt_i32_e32 vcc_lo, 32, v3
	v_cndmask_b32_e32 v3, v5, v3, vcc_lo
	v_cmp_gt_i32_e32 vcc_lo, 32, v7
	s_delay_alu instid0(VALU_DEP_2)
	v_lshlrev_b32_e32 v3, 2, v3
	v_dual_cndmask_b32 v7, v5, v7 :: v_dual_lshlrev_b32 v2, 2, v2
	ds_bpermute_b32 v2, v2, v9
	s_waitcnt lgkmcnt(0)
	v_dual_add_f32 v2, v9, v2 :: v_dual_lshlrev_b32 v7, 2, v7
	ds_bpermute_b32 v3, v3, v2
	s_waitcnt lgkmcnt(0)
	v_add_f32_e32 v2, v2, v3
	ds_bpermute_b32 v3, v7, v2
	v_xor_b32_e32 v7, 2, v5
	s_delay_alu instid0(VALU_DEP_1) | instskip(SKIP_1) | instid1(VALU_DEP_1)
	v_cmp_gt_i32_e32 vcc_lo, 32, v7
	v_cndmask_b32_e32 v7, v5, v7, vcc_lo
	v_lshlrev_b32_e32 v7, 2, v7
	s_waitcnt lgkmcnt(0)
	v_add_f32_e32 v2, v2, v3
	ds_bpermute_b32 v3, v7, v2
	v_xor_b32_e32 v7, 1, v5
	s_delay_alu instid0(VALU_DEP_1) | instskip(SKIP_1) | instid1(VALU_DEP_1)
	v_cmp_gt_i32_e32 vcc_lo, 32, v7
	v_cndmask_b32_e32 v7, v5, v7, vcc_lo
	v_lshlrev_b32_e32 v7, 2, v7
	s_waitcnt lgkmcnt(0)
	v_add_f32_e32 v2, v2, v3
	ds_bpermute_b32 v3, v7, v2
	v_max_f32_e64 v7, s18, s18
	s_waitcnt lgkmcnt(0)
	v_add_f32_e32 v2, v2, v3
	s_delay_alu instid0(VALU_DEP_1) | instskip(NEXT) | instid1(VALU_DEP_1)
	v_max_f32_e32 v2, v2, v7
	v_div_scale_f32 v3, null, v2, v2, 1.0
	s_delay_alu instid0(VALU_DEP_1) | instskip(SKIP_2) | instid1(VALU_DEP_1)
	v_rcp_f32_e32 v7, v3
	s_waitcnt_depctr 0xfff
	v_fma_f32 v8, -v3, v7, 1.0
	v_fmac_f32_e32 v7, v8, v7
	v_div_scale_f32 v8, vcc_lo, 1.0, v2, 1.0
	s_delay_alu instid0(VALU_DEP_1) | instskip(NEXT) | instid1(VALU_DEP_1)
	v_mul_f32_e32 v9, v8, v7
	v_fma_f32 v10, -v3, v9, v8
	s_delay_alu instid0(VALU_DEP_1) | instskip(NEXT) | instid1(VALU_DEP_1)
	v_fmac_f32_e32 v9, v10, v7
	v_fma_f32 v3, -v3, v9, v8
	s_delay_alu instid0(VALU_DEP_1) | instskip(NEXT) | instid1(VALU_DEP_1)
	v_div_fmas_f32 v3, v3, v7, v9
	v_div_fixup_f32 v2, v3, v2, 1.0
	s_delay_alu instid0(VALU_DEP_1)
	v_mul_f32_e32 v6, v6, v2
	v_cmp_gt_i32_e64 s0, s17, v4
	s_and_not1_b32 vcc_lo, exec_lo, s1
	s_cbranch_vccnz .LBB1_41
.LBB1_45:
	v_xor_b32_e32 v3, 16, v5
	v_xor_b32_e32 v8, 8, v5
	;; [unrolled: 1-line block ×5, first 2 shown]
	v_cmp_gt_i32_e32 vcc_lo, 32, v3
	v_dual_max_f32 v2, v6, v6 :: v_dual_cndmask_b32 v3, v5, v3
	s_delay_alu instid0(VALU_DEP_1) | instskip(SKIP_1) | instid1(VALU_DEP_3)
	v_max_f32_e32 v2, 0xff800000, v2
	v_cmp_gt_i32_e32 vcc_lo, 32, v8
	v_lshlrev_b32_e32 v3, 2, v3
	s_delay_alu instid0(VALU_DEP_3)
	v_cndmask_b32_e64 v2, 0xff800000, v2, s0
	ds_bpermute_b32 v7, v3, v2
	v_cndmask_b32_e32 v8, v5, v8, vcc_lo
	v_cmp_gt_i32_e32 vcc_lo, 32, v9
	v_cndmask_b32_e32 v9, v5, v9, vcc_lo
	v_cmp_gt_i32_e32 vcc_lo, 32, v10
	s_delay_alu instid0(VALU_DEP_2) | instskip(SKIP_1) | instid1(VALU_DEP_2)
	v_dual_cndmask_b32 v10, v5, v10 :: v_dual_lshlrev_b32 v9, 2, v9
	v_cmp_gt_i32_e32 vcc_lo, 32, v11
	v_dual_cndmask_b32 v5, v5, v11 :: v_dual_lshlrev_b32 v10, 2, v10
	s_waitcnt lgkmcnt(0)
	v_dual_max_f32 v7, v7, v7 :: v_dual_lshlrev_b32 v8, 2, v8
	s_delay_alu instid0(VALU_DEP_1) | instskip(SKIP_3) | instid1(VALU_DEP_1)
	v_dual_max_f32 v2, v2, v7 :: v_dual_lshlrev_b32 v5, 2, v5
	ds_bpermute_b32 v7, v8, v2
	s_waitcnt lgkmcnt(0)
	v_max_f32_e32 v7, v7, v7
	v_max_f32_e32 v2, v2, v7
	ds_bpermute_b32 v7, v9, v2
	s_waitcnt lgkmcnt(0)
	v_max_f32_e32 v7, v7, v7
	s_delay_alu instid0(VALU_DEP_1) | instskip(SKIP_3) | instid1(VALU_DEP_1)
	v_max_f32_e32 v2, v2, v7
	ds_bpermute_b32 v7, v10, v2
	s_waitcnt lgkmcnt(0)
	v_max_f32_e32 v7, v7, v7
	v_max_f32_e32 v2, v2, v7
	ds_bpermute_b32 v7, v5, v2
	s_waitcnt lgkmcnt(0)
	v_max_f32_e32 v7, v7, v7
	s_delay_alu instid0(VALU_DEP_1) | instskip(NEXT) | instid1(VALU_DEP_1)
	v_max_f32_e32 v2, v2, v7
	v_sub_f32_e32 v2, v6, v2
	s_delay_alu instid0(VALU_DEP_1) | instskip(SKIP_1) | instid1(VALU_DEP_2)
	v_mul_f32_e32 v6, 0x3fb8aa3b, v2
	v_cmp_ngt_f32_e32 vcc_lo, 0xc2ce8ed0, v2
	v_fma_f32 v7, 0x3fb8aa3b, v2, -v6
	v_rndne_f32_e32 v11, v6
	s_delay_alu instid0(VALU_DEP_2) | instskip(NEXT) | instid1(VALU_DEP_2)
	v_fmamk_f32 v7, v2, 0x32a5705f, v7
	v_sub_f32_e32 v6, v6, v11
	s_delay_alu instid0(VALU_DEP_1) | instskip(SKIP_1) | instid1(VALU_DEP_2)
	v_add_f32_e32 v6, v6, v7
	v_cvt_i32_f32_e32 v7, v11
	v_exp_f32_e32 v6, v6
	s_waitcnt_depctr 0xfff
	v_ldexp_f32 v6, v6, v7
	s_delay_alu instid0(VALU_DEP_1) | instskip(SKIP_1) | instid1(VALU_DEP_2)
	v_cndmask_b32_e32 v6, 0, v6, vcc_lo
	v_cmp_nlt_f32_e32 vcc_lo, 0x42b17218, v2
	v_cndmask_b32_e32 v2, 0x7f800000, v6, vcc_lo
	s_delay_alu instid0(VALU_DEP_1)
	v_cndmask_b32_e64 v6, 0, v2, s0
	ds_bpermute_b32 v3, v3, v6
	s_waitcnt lgkmcnt(0)
	v_add_f32_e32 v3, v6, v3
	ds_bpermute_b32 v6, v8, v3
	s_waitcnt lgkmcnt(0)
	v_add_f32_e32 v3, v3, v6
	;; [unrolled: 3-line block ×3, first 2 shown]
	ds_bpermute_b32 v6, v10, v3
	s_waitcnt lgkmcnt(0)
	v_dual_add_f32 v3, v3, v6 :: v_dual_mov_b32 v6, 0
	ds_bpermute_b32 v5, v5, v3
	s_and_saveexec_b32 s1, s0
	s_cbranch_execz .LBB1_47
; %bb.46:
	s_waitcnt lgkmcnt(0)
	v_add_f32_e32 v3, v3, v5
	s_delay_alu instid0(VALU_DEP_1) | instskip(NEXT) | instid1(VALU_DEP_1)
	v_div_scale_f32 v5, null, v3, v3, 1.0
	v_rcp_f32_e32 v6, v5
	s_waitcnt_depctr 0xfff
	v_fma_f32 v7, -v5, v6, 1.0
	s_delay_alu instid0(VALU_DEP_1) | instskip(SKIP_1) | instid1(VALU_DEP_1)
	v_fmac_f32_e32 v6, v7, v6
	v_div_scale_f32 v7, vcc_lo, 1.0, v3, 1.0
	v_mul_f32_e32 v8, v7, v6
	s_delay_alu instid0(VALU_DEP_1) | instskip(NEXT) | instid1(VALU_DEP_1)
	v_fma_f32 v9, -v5, v8, v7
	v_fmac_f32_e32 v8, v9, v6
	s_delay_alu instid0(VALU_DEP_1) | instskip(NEXT) | instid1(VALU_DEP_1)
	v_fma_f32 v5, -v5, v8, v7
	v_div_fmas_f32 v5, v5, v6, v8
	s_delay_alu instid0(VALU_DEP_1) | instskip(NEXT) | instid1(VALU_DEP_1)
	v_div_fixup_f32 v3, v5, v3, 1.0
	v_mul_f32_e32 v6, v2, v3
.LBB1_47:
	s_or_b32 exec_lo, exec_lo, s1
	v_cmp_gt_i32_e32 vcc_lo, s17, v4
	s_and_b32 exec_lo, exec_lo, vcc_lo
	s_cbranch_execnz .LBB1_42
	s_branch .LBB1_43
	.section	.rodata,"a",@progbits
	.p2align	6, 0x0
	.amdhsa_kernel _Z13topk_moe_cudaILi2ELb1EEvPKfPfPiS2_iiff15topk_moe_config
		.amdhsa_group_segment_fixed_size 0
		.amdhsa_private_segment_fixed_size 0
		.amdhsa_kernarg_size 312
		.amdhsa_user_sgpr_count 15
		.amdhsa_user_sgpr_dispatch_ptr 0
		.amdhsa_user_sgpr_queue_ptr 0
		.amdhsa_user_sgpr_kernarg_segment_ptr 1
		.amdhsa_user_sgpr_dispatch_id 0
		.amdhsa_user_sgpr_private_segment_size 0
		.amdhsa_wavefront_size32 1
		.amdhsa_uses_dynamic_stack 0
		.amdhsa_enable_private_segment 0
		.amdhsa_system_sgpr_workgroup_id_x 1
		.amdhsa_system_sgpr_workgroup_id_y 0
		.amdhsa_system_sgpr_workgroup_id_z 0
		.amdhsa_system_sgpr_workgroup_info 0
		.amdhsa_system_vgpr_workitem_id 1
		.amdhsa_next_free_vgpr 23
		.amdhsa_next_free_sgpr 20
		.amdhsa_reserve_vcc 1
		.amdhsa_float_round_mode_32 0
		.amdhsa_float_round_mode_16_64 0
		.amdhsa_float_denorm_mode_32 3
		.amdhsa_float_denorm_mode_16_64 3
		.amdhsa_dx10_clamp 1
		.amdhsa_ieee_mode 1
		.amdhsa_fp16_overflow 0
		.amdhsa_workgroup_processor_mode 1
		.amdhsa_memory_ordered 1
		.amdhsa_forward_progress 0
		.amdhsa_shared_vgpr_count 0
		.amdhsa_exception_fp_ieee_invalid_op 0
		.amdhsa_exception_fp_denorm_src 0
		.amdhsa_exception_fp_ieee_div_zero 0
		.amdhsa_exception_fp_ieee_overflow 0
		.amdhsa_exception_fp_ieee_underflow 0
		.amdhsa_exception_fp_ieee_inexact 0
		.amdhsa_exception_int_div_zero 0
	.end_amdhsa_kernel
	.section	.text._Z13topk_moe_cudaILi2ELb1EEvPKfPfPiS2_iiff15topk_moe_config,"axG",@progbits,_Z13topk_moe_cudaILi2ELb1EEvPKfPfPiS2_iiff15topk_moe_config,comdat
.Lfunc_end1:
	.size	_Z13topk_moe_cudaILi2ELb1EEvPKfPfPiS2_iiff15topk_moe_config, .Lfunc_end1-_Z13topk_moe_cudaILi2ELb1EEvPKfPfPiS2_iiff15topk_moe_config
                                        ; -- End function
	.section	.AMDGPU.csdata,"",@progbits
; Kernel info:
; codeLenInByte = 3096
; NumSgprs: 22
; NumVgprs: 23
; ScratchSize: 0
; MemoryBound: 0
; FloatMode: 240
; IeeeMode: 1
; LDSByteSize: 0 bytes/workgroup (compile time only)
; SGPRBlocks: 2
; VGPRBlocks: 2
; NumSGPRsForWavesPerEU: 22
; NumVGPRsForWavesPerEU: 23
; Occupancy: 16
; WaveLimiterHint : 0
; COMPUTE_PGM_RSRC2:SCRATCH_EN: 0
; COMPUTE_PGM_RSRC2:USER_SGPR: 15
; COMPUTE_PGM_RSRC2:TRAP_HANDLER: 0
; COMPUTE_PGM_RSRC2:TGID_X_EN: 1
; COMPUTE_PGM_RSRC2:TGID_Y_EN: 0
; COMPUTE_PGM_RSRC2:TGID_Z_EN: 0
; COMPUTE_PGM_RSRC2:TIDIG_COMP_CNT: 1
	.section	.text._Z13topk_moe_cudaILi4ELb1EEvPKfPfPiS2_iiff15topk_moe_config,"axG",@progbits,_Z13topk_moe_cudaILi4ELb1EEvPKfPfPiS2_iiff15topk_moe_config,comdat
	.protected	_Z13topk_moe_cudaILi4ELb1EEvPKfPfPiS2_iiff15topk_moe_config ; -- Begin function _Z13topk_moe_cudaILi4ELb1EEvPKfPfPiS2_iiff15topk_moe_config
	.globl	_Z13topk_moe_cudaILi4ELb1EEvPKfPfPiS2_iiff15topk_moe_config
	.p2align	8
	.type	_Z13topk_moe_cudaILi4ELb1EEvPKfPfPiS2_iiff15topk_moe_config,@function
_Z13topk_moe_cudaILi4ELb1EEvPKfPfPiS2_iiff15topk_moe_config: ; @_Z13topk_moe_cudaILi4ELb1EEvPKfPfPiS2_iiff15topk_moe_config
; %bb.0:
	s_clause 0x1
	s_load_b32 s2, s[0:1], 0x44
	s_load_b128 s[16:19], s[0:1], 0x20
	v_bfe_u32 v3, v0, 10, 10
	s_waitcnt lgkmcnt(0)
	s_lshr_b32 s2, s2, 16
	s_delay_alu instid0(VALU_DEP_1) | instid1(SALU_CYCLE_1)
	v_mad_u64_u32 v[1:2], null, s15, s2, v[3:4]
	s_mov_b32 s2, exec_lo
	s_delay_alu instid0(VALU_DEP_1)
	v_cmpx_gt_i32_e64 s16, v1
	s_cbranch_execz .LBB2_43
; %bb.1:
	v_mov_b32_e32 v2, 0
	s_load_b256 s[4:11], s[0:1], 0x0
	s_clause 0x1
	global_load_u16 v3, v2, s[0:1] offset:48
	global_load_u8 v6, v2, s[0:1] offset:50
	v_mov_b32_e32 v5, 0xff800000
	s_waitcnt vmcnt(1)
	v_lshrrev_b32_e32 v2, 8, v3
	v_and_b32_e32 v3, 0xff, v3
	s_waitcnt vmcnt(0)
	v_readfirstlane_b32 s2, v6
	s_delay_alu instid0(VALU_DEP_3) | instskip(SKIP_1) | instid1(VALU_DEP_3)
	v_lshlrev_b16 v4, 8, v2
	v_lshlrev_b32_e32 v2, 2, v1
	s_lshl_b32 s2, s2, 16
	s_delay_alu instid0(VALU_DEP_2) | instskip(NEXT) | instid1(VALU_DEP_2)
	v_or_b32_e32 v7, v3, v4
	v_ashrrev_i32_e32 v3, 31, v2
	v_and_b32_e32 v4, 0x3ff, v0
	s_delay_alu instid0(VALU_DEP_3) | instskip(NEXT) | instid1(VALU_DEP_3)
	v_readfirstlane_b32 s1, v7
	v_lshlrev_b64 v[2:3], 2, v[2:3]
	s_delay_alu instid0(VALU_DEP_3) | instskip(SKIP_1) | instid1(VALU_DEP_4)
	v_cmp_gt_u32_e64 s0, 4, v4
	v_lshlrev_b32_e32 v0, 2, v4
	s_and_b32 s1, 0xffff, s1
	s_delay_alu instid0(SALU_CYCLE_1) | instskip(NEXT) | instid1(VALU_DEP_2)
	s_or_b32 s2, s1, s2
	s_and_saveexec_b32 s1, s0
	s_cbranch_execz .LBB2_3
; %bb.2:
	s_waitcnt lgkmcnt(0)
	v_add_co_u32 v5, vcc_lo, s4, v2
	v_add_co_ci_u32_e32 v6, vcc_lo, s5, v3, vcc_lo
	s_delay_alu instid0(VALU_DEP_2) | instskip(NEXT) | instid1(VALU_DEP_2)
	v_add_co_u32 v5, vcc_lo, v5, v0
	v_add_co_ci_u32_e32 v6, vcc_lo, 0, v6, vcc_lo
	global_load_b32 v5, v[5:6], off
.LBB2_3:
	s_or_b32 exec_lo, exec_lo, s1
	s_bitcmp1_b32 s2, 16
	s_cselect_b32 s1, -1, 0
	s_delay_alu instid0(SALU_CYCLE_1)
	s_and_b32 vcc_lo, exec_lo, s1
	s_cbranch_vccnz .LBB2_9
; %bb.4:
	s_bitcmp0_b32 s2, 0
	s_mov_b32 s3, 0
	s_cbranch_scc0 .LBB2_6
; %bb.5:
	v_mbcnt_lo_u32_b32 v6, -1, 0
	s_delay_alu instid0(VALU_DEP_1)
	v_xor_b32_e32 v7, 16, v6
	v_xor_b32_e32 v10, 8, v6
	;; [unrolled: 1-line block ×5, first 2 shown]
	v_cmp_gt_i32_e32 vcc_lo, 32, v7
	s_waitcnt vmcnt(0)
	v_dual_max_f32 v8, v5, v5 :: v_dual_cndmask_b32 v7, v6, v7
	s_delay_alu instid0(VALU_DEP_1) | instskip(SKIP_1) | instid1(VALU_DEP_3)
	v_max_f32_e32 v8, 0xff800000, v8
	v_cmp_gt_i32_e32 vcc_lo, 32, v10
	v_lshlrev_b32_e32 v7, 2, v7
	ds_bpermute_b32 v9, v7, v8
	v_cndmask_b32_e32 v10, v6, v10, vcc_lo
	v_cmp_gt_i32_e32 vcc_lo, 32, v11
	v_cndmask_b32_e32 v11, v6, v11, vcc_lo
	v_cmp_gt_i32_e32 vcc_lo, 32, v12
	s_delay_alu instid0(VALU_DEP_2) | instskip(SKIP_1) | instid1(VALU_DEP_2)
	v_dual_cndmask_b32 v12, v6, v12 :: v_dual_lshlrev_b32 v11, 2, v11
	v_cmp_gt_i32_e32 vcc_lo, 32, v13
	v_lshlrev_b32_e32 v12, 2, v12
	v_cndmask_b32_e32 v6, v6, v13, vcc_lo
	s_waitcnt lgkmcnt(0)
	v_dual_max_f32 v9, v9, v9 :: v_dual_lshlrev_b32 v10, 2, v10
	s_delay_alu instid0(VALU_DEP_2) | instskip(NEXT) | instid1(VALU_DEP_2)
	v_lshlrev_b32_e32 v6, 2, v6
	v_max_f32_e32 v8, v8, v9
	ds_bpermute_b32 v9, v10, v8
	s_waitcnt lgkmcnt(0)
	v_max_f32_e32 v9, v9, v9
	s_delay_alu instid0(VALU_DEP_1) | instskip(SKIP_3) | instid1(VALU_DEP_1)
	v_max_f32_e32 v8, v8, v9
	ds_bpermute_b32 v9, v11, v8
	s_waitcnt lgkmcnt(0)
	v_max_f32_e32 v9, v9, v9
	v_max_f32_e32 v8, v8, v9
	ds_bpermute_b32 v9, v12, v8
	s_waitcnt lgkmcnt(0)
	v_max_f32_e32 v9, v9, v9
	s_delay_alu instid0(VALU_DEP_1) | instskip(SKIP_3) | instid1(VALU_DEP_1)
	v_max_f32_e32 v8, v8, v9
	ds_bpermute_b32 v9, v6, v8
	s_waitcnt lgkmcnt(0)
	v_max_f32_e32 v9, v9, v9
	v_max_f32_e32 v8, v8, v9
	s_delay_alu instid0(VALU_DEP_1) | instskip(NEXT) | instid1(VALU_DEP_1)
	v_sub_f32_e32 v8, v5, v8
	v_mul_f32_e32 v9, 0x3fb8aa3b, v8
	v_cmp_ngt_f32_e32 vcc_lo, 0xc2ce8ed0, v8
	s_delay_alu instid0(VALU_DEP_2) | instskip(SKIP_1) | instid1(VALU_DEP_2)
	v_fma_f32 v13, 0x3fb8aa3b, v8, -v9
	v_rndne_f32_e32 v14, v9
	v_fmamk_f32 v13, v8, 0x32a5705f, v13
	s_delay_alu instid0(VALU_DEP_2) | instskip(NEXT) | instid1(VALU_DEP_1)
	v_sub_f32_e32 v9, v9, v14
	v_add_f32_e32 v9, v9, v13
	v_cvt_i32_f32_e32 v13, v14
	s_delay_alu instid0(VALU_DEP_2) | instskip(SKIP_2) | instid1(VALU_DEP_1)
	v_exp_f32_e32 v9, v9
	s_waitcnt_depctr 0xfff
	v_ldexp_f32 v9, v9, v13
	v_cndmask_b32_e32 v9, 0, v9, vcc_lo
	v_cmp_nlt_f32_e32 vcc_lo, 0x42b17218, v8
	s_delay_alu instid0(VALU_DEP_2)
	v_cndmask_b32_e32 v8, 0x7f800000, v9, vcc_lo
	ds_bpermute_b32 v7, v7, v8
	s_waitcnt lgkmcnt(0)
	v_add_f32_e32 v7, v8, v7
	ds_bpermute_b32 v9, v10, v7
	s_waitcnt lgkmcnt(0)
	v_add_f32_e32 v7, v7, v9
	;; [unrolled: 3-line block ×5, first 2 shown]
	s_delay_alu instid0(VALU_DEP_1) | instskip(NEXT) | instid1(VALU_DEP_1)
	v_div_scale_f32 v7, null, v6, v6, 1.0
	v_rcp_f32_e32 v9, v7
	s_waitcnt_depctr 0xfff
	v_fma_f32 v10, -v7, v9, 1.0
	s_delay_alu instid0(VALU_DEP_1) | instskip(SKIP_1) | instid1(VALU_DEP_1)
	v_fmac_f32_e32 v9, v10, v9
	v_div_scale_f32 v10, vcc_lo, 1.0, v6, 1.0
	v_mul_f32_e32 v11, v10, v9
	s_delay_alu instid0(VALU_DEP_1) | instskip(NEXT) | instid1(VALU_DEP_1)
	v_fma_f32 v12, -v7, v11, v10
	v_fmac_f32_e32 v11, v12, v9
	s_delay_alu instid0(VALU_DEP_1) | instskip(NEXT) | instid1(VALU_DEP_1)
	v_fma_f32 v7, -v7, v11, v10
	v_div_fmas_f32 v7, v7, v9, v11
	s_delay_alu instid0(VALU_DEP_1) | instskip(NEXT) | instid1(VALU_DEP_1)
	v_div_fixup_f32 v6, v7, v6, 1.0
	v_mul_f32_e32 v6, v8, v6
	s_and_not1_b32 vcc_lo, exec_lo, s3
	s_cbranch_vccz .LBB2_7
	s_branch .LBB2_8
.LBB2_6:
                                        ; implicit-def: $vgpr6
.LBB2_7:
	s_waitcnt vmcnt(0)
	v_mul_f32_e32 v6, 0xbfb8aa3b, v5
	v_cmp_nlt_f32_e32 vcc_lo, 0x42ce8ed0, v5
	s_delay_alu instid0(VALU_DEP_2) | instskip(SKIP_1) | instid1(VALU_DEP_2)
	v_rndne_f32_e32 v7, v6
	v_fma_f32 v8, 0xbfb8aa3b, v5, -v6
	v_sub_f32_e32 v6, v6, v7
	s_delay_alu instid0(VALU_DEP_2) | instskip(SKIP_1) | instid1(VALU_DEP_2)
	v_fmamk_f32 v8, v5, 0xb2a5705f, v8
	v_cvt_i32_f32_e32 v7, v7
	v_add_f32_e32 v6, v6, v8
	s_delay_alu instid0(VALU_DEP_1) | instskip(SKIP_2) | instid1(VALU_DEP_1)
	v_exp_f32_e32 v6, v6
	s_waitcnt_depctr 0xfff
	v_ldexp_f32 v6, v6, v7
	v_cndmask_b32_e32 v6, 0, v6, vcc_lo
	v_cmp_ngt_f32_e32 vcc_lo, 0xc2b17218, v5
	s_delay_alu instid0(VALU_DEP_2) | instskip(NEXT) | instid1(VALU_DEP_1)
	v_cndmask_b32_e32 v5, 0x7f800000, v6, vcc_lo
	v_add_f32_e32 v5, 1.0, v5
	s_delay_alu instid0(VALU_DEP_1) | instskip(NEXT) | instid1(VALU_DEP_1)
	v_div_scale_f32 v6, null, v5, v5, 1.0
	v_rcp_f32_e32 v7, v6
	s_waitcnt_depctr 0xfff
	v_fma_f32 v8, -v6, v7, 1.0
	s_delay_alu instid0(VALU_DEP_1) | instskip(SKIP_1) | instid1(VALU_DEP_1)
	v_fmac_f32_e32 v7, v8, v7
	v_div_scale_f32 v8, vcc_lo, 1.0, v5, 1.0
	v_mul_f32_e32 v9, v8, v7
	s_delay_alu instid0(VALU_DEP_1) | instskip(NEXT) | instid1(VALU_DEP_1)
	v_fma_f32 v10, -v6, v9, v8
	v_fmac_f32_e32 v9, v10, v7
	s_delay_alu instid0(VALU_DEP_1) | instskip(NEXT) | instid1(VALU_DEP_1)
	v_fma_f32 v6, -v6, v9, v8
	v_div_fmas_f32 v6, v6, v7, v9
	s_delay_alu instid0(VALU_DEP_1)
	v_div_fixup_f32 v6, v6, v5, 1.0
.LBB2_8:
	s_waitcnt vmcnt(0)
	s_delay_alu instid0(VALU_DEP_1)
	v_mov_b32_e32 v5, v6
.LBB2_9:
	s_waitcnt vmcnt(0)
	s_delay_alu instid0(VALU_DEP_1)
	v_cmp_o_f32_e32 vcc_lo, v5, v5
	v_mov_b32_e32 v8, 0xff800000
	v_cndmask_b32_e32 v7, 0xff7fffff, v5, vcc_lo
	s_and_saveexec_b32 s3, s0
	s_cbranch_execz .LBB2_11
; %bb.10:
	s_waitcnt lgkmcnt(0)
	global_load_b32 v5, v0, s[10:11]
	s_waitcnt vmcnt(0)
	v_add_f32_e32 v8, v7, v5
.LBB2_11:
	s_or_b32 exec_lo, exec_lo, s3
	s_lshr_b32 s0, s2, 8
	s_cmp_gt_i32 s17, 0
	s_mov_b32 s3, 0
	s_cbranch_scc1 .LBB2_13
; %bb.12:
	s_bitcmp1_b32 s0, 0
	s_waitcnt lgkmcnt(0)
	s_mov_b32 s4, 0
	s_cselect_b32 s2, -1, 0
	s_branch .LBB2_14
.LBB2_13:
	s_mov_b32 s3, -1
                                        ; implicit-def: $sgpr4
                                        ; implicit-def: $sgpr2
.LBB2_14:
	s_waitcnt lgkmcnt(0)
	v_dual_mov_b32 v9, s4 :: v_dual_mov_b32 v6, s4
	v_mbcnt_lo_u32_b32 v5, -1, 0
	s_and_not1_b32 vcc_lo, exec_lo, s3
	s_cbranch_vccnz .LBB2_39
; %bb.15:
	s_delay_alu instid0(VALU_DEP_1) | instskip(SKIP_3) | instid1(VALU_DEP_4)
	v_xor_b32_e32 v6, 16, v5
	v_add_co_u32 v2, vcc_lo, s8, v2
	v_add_co_ci_u32_e32 v3, vcc_lo, s9, v3, vcc_lo
	v_xor_b32_e32 v9, 8, v5
	v_cmp_gt_i32_e32 vcc_lo, 32, v6
	v_xor_b32_e32 v10, 4, v5
	v_xor_b32_e32 v11, 2, v5
	;; [unrolled: 1-line block ×3, first 2 shown]
	s_bitcmp1_b32 s0, 0
	v_cndmask_b32_e32 v6, v5, v6, vcc_lo
	v_cmp_gt_i32_e32 vcc_lo, 32, v9
	s_mov_b32 s3, 0
	s_cselect_b32 s2, -1, 0
	v_cndmask_b32_e32 v9, v5, v9, vcc_lo
	v_cmp_gt_i32_e32 vcc_lo, 32, v10
	v_cndmask_b32_e32 v13, v5, v10, vcc_lo
	v_cmp_gt_i32_e32 vcc_lo, 32, v11
	;; [unrolled: 2-line block ×3, first 2 shown]
	v_lshlrev_b32_e32 v11, 2, v9
	v_dual_mov_b32 v9, 0 :: v_dual_lshlrev_b32 v10, 2, v6
	v_dual_mov_b32 v6, 0 :: v_dual_cndmask_b32 v15, v5, v12
	v_lshlrev_b32_e32 v12, 2, v13
	v_lshlrev_b32_e32 v13, 2, v14
	s_delay_alu instid0(VALU_DEP_3)
	v_lshlrev_b32_e32 v14, 2, v15
	s_branch .LBB2_17
.LBB2_16:                               ;   in Loop: Header=BB2_17 Depth=1
	s_or_b32 exec_lo, exec_lo, s0
	s_and_b32 s0, s3, 31
	v_cndmask_b32_e64 v8, v8, 0xff800000, vcc_lo
	v_cmp_eq_u32_e32 vcc_lo, s0, v4
	s_add_i32 s3, s3, 1
	s_delay_alu instid0(SALU_CYCLE_1)
	s_cmp_eq_u32 s17, s3
	v_cndmask_b32_e32 v6, v6, v15, vcc_lo
	v_add_co_u32 v2, vcc_lo, v2, 4
	v_add_co_ci_u32_e32 v3, vcc_lo, 0, v3, vcc_lo
	s_cbranch_scc1 .LBB2_39
.LBB2_17:                               ; =>This Inner Loop Header: Depth=1
	ds_bpermute_b32 v20, v10, v8
	ds_bpermute_b32 v21, v10, v7
	;; [unrolled: 1-line block ×3, first 2 shown]
	s_mov_b32 s5, exec_lo
                                        ; implicit-def: $vgpr17
	s_waitcnt lgkmcnt(2)
	v_cmp_lt_f32_e64 s4, v8, v20
	v_cmpx_nlt_f32_e32 v8, v20
	s_cbranch_execz .LBB2_19
; %bb.18:                               ;   in Loop: Header=BB2_17 Depth=1
	v_cmp_eq_f32_e32 vcc_lo, v8, v20
	s_waitcnt lgkmcnt(0)
	v_cmp_lt_i32_e64 s0, v22, v4
	v_mov_b32_e32 v17, v8
	s_and_not1_b32 s4, s4, exec_lo
	s_delay_alu instid0(VALU_DEP_2) | instskip(NEXT) | instid1(SALU_CYCLE_1)
	s_and_b32 s0, vcc_lo, s0
	s_and_b32 s0, s0, exec_lo
	s_delay_alu instid0(SALU_CYCLE_1)
	s_or_b32 s4, s4, s0
.LBB2_19:                               ;   in Loop: Header=BB2_17 Depth=1
	s_or_b32 exec_lo, exec_lo, s5
	v_dual_mov_b32 v18, v7 :: v_dual_mov_b32 v19, v8
	v_dual_mov_b32 v15, v7 :: v_dual_mov_b32 v16, v4
	s_and_saveexec_b32 s0, s4
	s_cbranch_execz .LBB2_21
; %bb.20:                               ;   in Loop: Header=BB2_17 Depth=1
	s_waitcnt lgkmcnt(1)
	v_dual_mov_b32 v17, v20 :: v_dual_mov_b32 v18, v21
	s_waitcnt lgkmcnt(0)
	v_dual_mov_b32 v15, v21 :: v_dual_mov_b32 v16, v22
	v_mov_b32_e32 v19, v20
.LBB2_21:                               ;   in Loop: Header=BB2_17 Depth=1
	s_or_b32 exec_lo, exec_lo, s0
	ds_bpermute_b32 v20, v11, v17
	s_waitcnt lgkmcnt(1)
	ds_bpermute_b32 v22, v11, v18
	ds_bpermute_b32 v21, v11, v16
	s_mov_b32 s5, exec_lo
	s_waitcnt lgkmcnt(2)
	v_cmp_lt_f32_e64 s4, v19, v20
	v_cmpx_nlt_f32_e32 v19, v20
	s_cbranch_execz .LBB2_23
; %bb.22:                               ;   in Loop: Header=BB2_17 Depth=1
	v_cmp_eq_f32_e32 vcc_lo, v19, v20
	s_waitcnt lgkmcnt(0)
	v_cmp_lt_i32_e64 s0, v21, v16
	s_and_not1_b32 s4, s4, exec_lo
	s_delay_alu instid0(VALU_DEP_1) | instskip(NEXT) | instid1(SALU_CYCLE_1)
	s_and_b32 s0, vcc_lo, s0
	s_and_b32 s0, s0, exec_lo
	s_delay_alu instid0(SALU_CYCLE_1)
	s_or_b32 s4, s4, s0
.LBB2_23:                               ;   in Loop: Header=BB2_17 Depth=1
	s_or_b32 exec_lo, exec_lo, s5
	s_delay_alu instid0(VALU_DEP_2)
	s_and_saveexec_b32 s0, s4
	s_cbranch_execz .LBB2_25
; %bb.24:                               ;   in Loop: Header=BB2_17 Depth=1
	s_waitcnt lgkmcnt(1)
	v_dual_mov_b32 v17, v20 :: v_dual_mov_b32 v18, v22
	s_waitcnt lgkmcnt(0)
	v_dual_mov_b32 v15, v22 :: v_dual_mov_b32 v16, v21
	v_mov_b32_e32 v19, v20
.LBB2_25:                               ;   in Loop: Header=BB2_17 Depth=1
	s_or_b32 exec_lo, exec_lo, s0
	ds_bpermute_b32 v20, v12, v17
	s_waitcnt lgkmcnt(2)
	ds_bpermute_b32 v22, v12, v18
	s_waitcnt lgkmcnt(2)
	ds_bpermute_b32 v21, v12, v16
	s_mov_b32 s5, exec_lo
	s_waitcnt lgkmcnt(2)
	v_cmp_lt_f32_e64 s4, v19, v20
	v_cmpx_nlt_f32_e32 v19, v20
	s_cbranch_execz .LBB2_27
; %bb.26:                               ;   in Loop: Header=BB2_17 Depth=1
	v_cmp_eq_f32_e32 vcc_lo, v19, v20
	s_waitcnt lgkmcnt(0)
	v_cmp_lt_i32_e64 s0, v21, v16
	s_and_not1_b32 s4, s4, exec_lo
	s_delay_alu instid0(VALU_DEP_1) | instskip(NEXT) | instid1(SALU_CYCLE_1)
	s_and_b32 s0, vcc_lo, s0
	s_and_b32 s0, s0, exec_lo
	s_delay_alu instid0(SALU_CYCLE_1)
	s_or_b32 s4, s4, s0
.LBB2_27:                               ;   in Loop: Header=BB2_17 Depth=1
	s_or_b32 exec_lo, exec_lo, s5
	s_delay_alu instid0(VALU_DEP_2)
	s_and_saveexec_b32 s0, s4
	s_cbranch_execz .LBB2_29
; %bb.28:                               ;   in Loop: Header=BB2_17 Depth=1
	s_waitcnt lgkmcnt(1)
	v_dual_mov_b32 v17, v20 :: v_dual_mov_b32 v18, v22
	s_waitcnt lgkmcnt(0)
	v_dual_mov_b32 v15, v22 :: v_dual_mov_b32 v16, v21
	v_mov_b32_e32 v19, v20
.LBB2_29:                               ;   in Loop: Header=BB2_17 Depth=1
	s_or_b32 exec_lo, exec_lo, s0
	ds_bpermute_b32 v20, v13, v17
	s_waitcnt lgkmcnt(2)
	ds_bpermute_b32 v22, v13, v18
	s_waitcnt lgkmcnt(2)
	ds_bpermute_b32 v21, v13, v16
	s_mov_b32 s5, exec_lo
	s_waitcnt lgkmcnt(2)
	v_cmp_lt_f32_e64 s4, v19, v20
	v_cmpx_nlt_f32_e32 v19, v20
	s_cbranch_execz .LBB2_31
; %bb.30:                               ;   in Loop: Header=BB2_17 Depth=1
	v_cmp_eq_f32_e32 vcc_lo, v19, v20
	s_waitcnt lgkmcnt(0)
	v_cmp_lt_i32_e64 s0, v21, v16
	s_and_not1_b32 s4, s4, exec_lo
	s_delay_alu instid0(VALU_DEP_1) | instskip(NEXT) | instid1(SALU_CYCLE_1)
	s_and_b32 s0, vcc_lo, s0
	s_and_b32 s0, s0, exec_lo
	s_delay_alu instid0(SALU_CYCLE_1)
	s_or_b32 s4, s4, s0
.LBB2_31:                               ;   in Loop: Header=BB2_17 Depth=1
	s_or_b32 exec_lo, exec_lo, s5
	s_delay_alu instid0(VALU_DEP_2)
	s_and_saveexec_b32 s0, s4
	s_cbranch_execz .LBB2_33
; %bb.32:                               ;   in Loop: Header=BB2_17 Depth=1
	s_waitcnt lgkmcnt(1)
	v_dual_mov_b32 v17, v20 :: v_dual_mov_b32 v18, v22
	s_waitcnt lgkmcnt(0)
	v_dual_mov_b32 v15, v22 :: v_dual_mov_b32 v16, v21
	v_mov_b32_e32 v19, v20
.LBB2_33:                               ;   in Loop: Header=BB2_17 Depth=1
	s_or_b32 exec_lo, exec_lo, s0
	ds_bpermute_b32 v20, v14, v17
	ds_bpermute_b32 v18, v14, v18
	;; [unrolled: 1-line block ×3, first 2 shown]
	s_mov_b32 s5, exec_lo
	s_waitcnt lgkmcnt(2)
	v_cmp_lt_f32_e64 s4, v19, v20
	v_cmpx_nlt_f32_e32 v19, v20
	s_cbranch_execz .LBB2_35
; %bb.34:                               ;   in Loop: Header=BB2_17 Depth=1
	v_cmp_eq_f32_e32 vcc_lo, v19, v20
	s_waitcnt lgkmcnt(0)
	v_cmp_lt_i32_e64 s0, v17, v16
	s_and_not1_b32 s4, s4, exec_lo
	s_delay_alu instid0(VALU_DEP_1) | instskip(NEXT) | instid1(SALU_CYCLE_1)
	s_and_b32 s0, vcc_lo, s0
	s_and_b32 s0, s0, exec_lo
	s_delay_alu instid0(SALU_CYCLE_1)
	s_or_b32 s4, s4, s0
.LBB2_35:                               ;   in Loop: Header=BB2_17 Depth=1
	s_or_b32 exec_lo, exec_lo, s5
	s_delay_alu instid0(VALU_DEP_2)
	s_and_saveexec_b32 s0, s4
	s_cbranch_execz .LBB2_37
; %bb.36:                               ;   in Loop: Header=BB2_17 Depth=1
	s_waitcnt lgkmcnt(0)
	v_dual_mov_b32 v15, v18 :: v_dual_mov_b32 v16, v17
.LBB2_37:                               ;   in Loop: Header=BB2_17 Depth=1
	s_or_b32 exec_lo, exec_lo, s0
	s_waitcnt lgkmcnt(0)
	s_delay_alu instid0(VALU_DEP_1) | instskip(NEXT) | instid1(VALU_DEP_1)
	v_and_b32_e32 v17, 31, v16
	v_cmp_eq_u32_e32 vcc_lo, v17, v4
	s_and_saveexec_b32 s0, vcc_lo
	s_cbranch_execz .LBB2_16
; %bb.38:                               ;   in Loop: Header=BB2_17 Depth=1
	v_add_f32_e32 v17, v9, v15
	global_store_b32 v[2:3], v16, off
	v_cndmask_b32_e64 v9, v9, v17, s2
	s_branch .LBB2_16
.LBB2_39:
	s_and_b32 vcc_lo, exec_lo, s2
	s_cbranch_vccnz .LBB2_44
; %bb.40:
	v_cmp_gt_i32_e64 s0, s17, v4
	s_and_not1_b32 vcc_lo, exec_lo, s1
	s_cbranch_vccz .LBB2_45
.LBB2_41:
	v_cmp_gt_i32_e32 vcc_lo, s17, v4
	s_and_b32 exec_lo, exec_lo, vcc_lo
	s_cbranch_execz .LBB2_43
.LBB2_42:
	v_mul_lo_u32 v1, v1, s17
	s_delay_alu instid0(VALU_DEP_1) | instskip(NEXT) | instid1(VALU_DEP_1)
	v_ashrrev_i32_e32 v2, 31, v1
	v_lshlrev_b64 v[1:2], 2, v[1:2]
	s_delay_alu instid0(VALU_DEP_1) | instskip(NEXT) | instid1(VALU_DEP_2)
	v_add_co_u32 v1, vcc_lo, s6, v1
	v_add_co_ci_u32_e32 v2, vcc_lo, s7, v2, vcc_lo
	s_delay_alu instid0(VALU_DEP_2) | instskip(NEXT) | instid1(VALU_DEP_2)
	v_add_co_u32 v0, vcc_lo, v1, v0
	v_add_co_ci_u32_e32 v1, vcc_lo, 0, v2, vcc_lo
	v_mul_f32_e32 v2, s19, v6
	global_store_b32 v[0:1], v2, off
.LBB2_43:
	s_nop 0
	s_sendmsg sendmsg(MSG_DEALLOC_VGPRS)
	s_endpgm
.LBB2_44:
	v_xor_b32_e32 v2, 16, v5
	v_xor_b32_e32 v3, 8, v5
	;; [unrolled: 1-line block ×3, first 2 shown]
	s_delay_alu instid0(VALU_DEP_3) | instskip(SKIP_1) | instid1(VALU_DEP_4)
	v_cmp_gt_i32_e32 vcc_lo, 32, v2
	v_cndmask_b32_e32 v2, v5, v2, vcc_lo
	v_cmp_gt_i32_e32 vcc_lo, 32, v3
	v_cndmask_b32_e32 v3, v5, v3, vcc_lo
	v_cmp_gt_i32_e32 vcc_lo, 32, v7
	s_delay_alu instid0(VALU_DEP_2)
	v_lshlrev_b32_e32 v3, 2, v3
	v_dual_cndmask_b32 v7, v5, v7 :: v_dual_lshlrev_b32 v2, 2, v2
	ds_bpermute_b32 v2, v2, v9
	s_waitcnt lgkmcnt(0)
	v_dual_add_f32 v2, v9, v2 :: v_dual_lshlrev_b32 v7, 2, v7
	ds_bpermute_b32 v3, v3, v2
	s_waitcnt lgkmcnt(0)
	v_add_f32_e32 v2, v2, v3
	ds_bpermute_b32 v3, v7, v2
	v_xor_b32_e32 v7, 2, v5
	s_delay_alu instid0(VALU_DEP_1) | instskip(SKIP_1) | instid1(VALU_DEP_1)
	v_cmp_gt_i32_e32 vcc_lo, 32, v7
	v_cndmask_b32_e32 v7, v5, v7, vcc_lo
	v_lshlrev_b32_e32 v7, 2, v7
	s_waitcnt lgkmcnt(0)
	v_add_f32_e32 v2, v2, v3
	ds_bpermute_b32 v3, v7, v2
	v_xor_b32_e32 v7, 1, v5
	s_delay_alu instid0(VALU_DEP_1) | instskip(SKIP_1) | instid1(VALU_DEP_1)
	v_cmp_gt_i32_e32 vcc_lo, 32, v7
	v_cndmask_b32_e32 v7, v5, v7, vcc_lo
	v_lshlrev_b32_e32 v7, 2, v7
	s_waitcnt lgkmcnt(0)
	v_add_f32_e32 v2, v2, v3
	ds_bpermute_b32 v3, v7, v2
	v_max_f32_e64 v7, s18, s18
	s_waitcnt lgkmcnt(0)
	v_add_f32_e32 v2, v2, v3
	s_delay_alu instid0(VALU_DEP_1) | instskip(NEXT) | instid1(VALU_DEP_1)
	v_max_f32_e32 v2, v2, v7
	v_div_scale_f32 v3, null, v2, v2, 1.0
	s_delay_alu instid0(VALU_DEP_1) | instskip(SKIP_2) | instid1(VALU_DEP_1)
	v_rcp_f32_e32 v7, v3
	s_waitcnt_depctr 0xfff
	v_fma_f32 v8, -v3, v7, 1.0
	v_fmac_f32_e32 v7, v8, v7
	v_div_scale_f32 v8, vcc_lo, 1.0, v2, 1.0
	s_delay_alu instid0(VALU_DEP_1) | instskip(NEXT) | instid1(VALU_DEP_1)
	v_mul_f32_e32 v9, v8, v7
	v_fma_f32 v10, -v3, v9, v8
	s_delay_alu instid0(VALU_DEP_1) | instskip(NEXT) | instid1(VALU_DEP_1)
	v_fmac_f32_e32 v9, v10, v7
	v_fma_f32 v3, -v3, v9, v8
	s_delay_alu instid0(VALU_DEP_1) | instskip(NEXT) | instid1(VALU_DEP_1)
	v_div_fmas_f32 v3, v3, v7, v9
	v_div_fixup_f32 v2, v3, v2, 1.0
	s_delay_alu instid0(VALU_DEP_1)
	v_mul_f32_e32 v6, v6, v2
	v_cmp_gt_i32_e64 s0, s17, v4
	s_and_not1_b32 vcc_lo, exec_lo, s1
	s_cbranch_vccnz .LBB2_41
.LBB2_45:
	v_xor_b32_e32 v3, 16, v5
	v_xor_b32_e32 v8, 8, v5
	;; [unrolled: 1-line block ×5, first 2 shown]
	v_cmp_gt_i32_e32 vcc_lo, 32, v3
	v_dual_max_f32 v2, v6, v6 :: v_dual_cndmask_b32 v3, v5, v3
	s_delay_alu instid0(VALU_DEP_1) | instskip(SKIP_1) | instid1(VALU_DEP_3)
	v_max_f32_e32 v2, 0xff800000, v2
	v_cmp_gt_i32_e32 vcc_lo, 32, v8
	v_lshlrev_b32_e32 v3, 2, v3
	s_delay_alu instid0(VALU_DEP_3)
	v_cndmask_b32_e64 v2, 0xff800000, v2, s0
	ds_bpermute_b32 v7, v3, v2
	v_cndmask_b32_e32 v8, v5, v8, vcc_lo
	v_cmp_gt_i32_e32 vcc_lo, 32, v9
	v_cndmask_b32_e32 v9, v5, v9, vcc_lo
	v_cmp_gt_i32_e32 vcc_lo, 32, v10
	s_delay_alu instid0(VALU_DEP_2) | instskip(SKIP_1) | instid1(VALU_DEP_2)
	v_dual_cndmask_b32 v10, v5, v10 :: v_dual_lshlrev_b32 v9, 2, v9
	v_cmp_gt_i32_e32 vcc_lo, 32, v11
	v_dual_cndmask_b32 v5, v5, v11 :: v_dual_lshlrev_b32 v10, 2, v10
	s_waitcnt lgkmcnt(0)
	v_dual_max_f32 v7, v7, v7 :: v_dual_lshlrev_b32 v8, 2, v8
	s_delay_alu instid0(VALU_DEP_1) | instskip(SKIP_3) | instid1(VALU_DEP_1)
	v_dual_max_f32 v2, v2, v7 :: v_dual_lshlrev_b32 v5, 2, v5
	ds_bpermute_b32 v7, v8, v2
	s_waitcnt lgkmcnt(0)
	v_max_f32_e32 v7, v7, v7
	v_max_f32_e32 v2, v2, v7
	ds_bpermute_b32 v7, v9, v2
	s_waitcnt lgkmcnt(0)
	v_max_f32_e32 v7, v7, v7
	s_delay_alu instid0(VALU_DEP_1) | instskip(SKIP_3) | instid1(VALU_DEP_1)
	v_max_f32_e32 v2, v2, v7
	ds_bpermute_b32 v7, v10, v2
	s_waitcnt lgkmcnt(0)
	v_max_f32_e32 v7, v7, v7
	v_max_f32_e32 v2, v2, v7
	ds_bpermute_b32 v7, v5, v2
	s_waitcnt lgkmcnt(0)
	v_max_f32_e32 v7, v7, v7
	s_delay_alu instid0(VALU_DEP_1) | instskip(NEXT) | instid1(VALU_DEP_1)
	v_max_f32_e32 v2, v2, v7
	v_sub_f32_e32 v2, v6, v2
	s_delay_alu instid0(VALU_DEP_1) | instskip(SKIP_1) | instid1(VALU_DEP_2)
	v_mul_f32_e32 v6, 0x3fb8aa3b, v2
	v_cmp_ngt_f32_e32 vcc_lo, 0xc2ce8ed0, v2
	v_fma_f32 v7, 0x3fb8aa3b, v2, -v6
	v_rndne_f32_e32 v11, v6
	s_delay_alu instid0(VALU_DEP_2) | instskip(NEXT) | instid1(VALU_DEP_2)
	v_fmamk_f32 v7, v2, 0x32a5705f, v7
	v_sub_f32_e32 v6, v6, v11
	s_delay_alu instid0(VALU_DEP_1) | instskip(SKIP_1) | instid1(VALU_DEP_2)
	v_add_f32_e32 v6, v6, v7
	v_cvt_i32_f32_e32 v7, v11
	v_exp_f32_e32 v6, v6
	s_waitcnt_depctr 0xfff
	v_ldexp_f32 v6, v6, v7
	s_delay_alu instid0(VALU_DEP_1) | instskip(SKIP_1) | instid1(VALU_DEP_2)
	v_cndmask_b32_e32 v6, 0, v6, vcc_lo
	v_cmp_nlt_f32_e32 vcc_lo, 0x42b17218, v2
	v_cndmask_b32_e32 v2, 0x7f800000, v6, vcc_lo
	s_delay_alu instid0(VALU_DEP_1)
	v_cndmask_b32_e64 v6, 0, v2, s0
	ds_bpermute_b32 v3, v3, v6
	s_waitcnt lgkmcnt(0)
	v_add_f32_e32 v3, v6, v3
	ds_bpermute_b32 v6, v8, v3
	s_waitcnt lgkmcnt(0)
	v_add_f32_e32 v3, v3, v6
	;; [unrolled: 3-line block ×3, first 2 shown]
	ds_bpermute_b32 v6, v10, v3
	s_waitcnt lgkmcnt(0)
	v_dual_add_f32 v3, v3, v6 :: v_dual_mov_b32 v6, 0
	ds_bpermute_b32 v5, v5, v3
	s_and_saveexec_b32 s1, s0
	s_cbranch_execz .LBB2_47
; %bb.46:
	s_waitcnt lgkmcnt(0)
	v_add_f32_e32 v3, v3, v5
	s_delay_alu instid0(VALU_DEP_1) | instskip(NEXT) | instid1(VALU_DEP_1)
	v_div_scale_f32 v5, null, v3, v3, 1.0
	v_rcp_f32_e32 v6, v5
	s_waitcnt_depctr 0xfff
	v_fma_f32 v7, -v5, v6, 1.0
	s_delay_alu instid0(VALU_DEP_1) | instskip(SKIP_1) | instid1(VALU_DEP_1)
	v_fmac_f32_e32 v6, v7, v6
	v_div_scale_f32 v7, vcc_lo, 1.0, v3, 1.0
	v_mul_f32_e32 v8, v7, v6
	s_delay_alu instid0(VALU_DEP_1) | instskip(NEXT) | instid1(VALU_DEP_1)
	v_fma_f32 v9, -v5, v8, v7
	v_fmac_f32_e32 v8, v9, v6
	s_delay_alu instid0(VALU_DEP_1) | instskip(NEXT) | instid1(VALU_DEP_1)
	v_fma_f32 v5, -v5, v8, v7
	v_div_fmas_f32 v5, v5, v6, v8
	s_delay_alu instid0(VALU_DEP_1) | instskip(NEXT) | instid1(VALU_DEP_1)
	v_div_fixup_f32 v3, v5, v3, 1.0
	v_mul_f32_e32 v6, v2, v3
.LBB2_47:
	s_or_b32 exec_lo, exec_lo, s1
	v_cmp_gt_i32_e32 vcc_lo, s17, v4
	s_and_b32 exec_lo, exec_lo, vcc_lo
	s_cbranch_execnz .LBB2_42
	s_branch .LBB2_43
	.section	.rodata,"a",@progbits
	.p2align	6, 0x0
	.amdhsa_kernel _Z13topk_moe_cudaILi4ELb1EEvPKfPfPiS2_iiff15topk_moe_config
		.amdhsa_group_segment_fixed_size 0
		.amdhsa_private_segment_fixed_size 0
		.amdhsa_kernarg_size 312
		.amdhsa_user_sgpr_count 15
		.amdhsa_user_sgpr_dispatch_ptr 0
		.amdhsa_user_sgpr_queue_ptr 0
		.amdhsa_user_sgpr_kernarg_segment_ptr 1
		.amdhsa_user_sgpr_dispatch_id 0
		.amdhsa_user_sgpr_private_segment_size 0
		.amdhsa_wavefront_size32 1
		.amdhsa_uses_dynamic_stack 0
		.amdhsa_enable_private_segment 0
		.amdhsa_system_sgpr_workgroup_id_x 1
		.amdhsa_system_sgpr_workgroup_id_y 0
		.amdhsa_system_sgpr_workgroup_id_z 0
		.amdhsa_system_sgpr_workgroup_info 0
		.amdhsa_system_vgpr_workitem_id 1
		.amdhsa_next_free_vgpr 23
		.amdhsa_next_free_sgpr 20
		.amdhsa_reserve_vcc 1
		.amdhsa_float_round_mode_32 0
		.amdhsa_float_round_mode_16_64 0
		.amdhsa_float_denorm_mode_32 3
		.amdhsa_float_denorm_mode_16_64 3
		.amdhsa_dx10_clamp 1
		.amdhsa_ieee_mode 1
		.amdhsa_fp16_overflow 0
		.amdhsa_workgroup_processor_mode 1
		.amdhsa_memory_ordered 1
		.amdhsa_forward_progress 0
		.amdhsa_shared_vgpr_count 0
		.amdhsa_exception_fp_ieee_invalid_op 0
		.amdhsa_exception_fp_denorm_src 0
		.amdhsa_exception_fp_ieee_div_zero 0
		.amdhsa_exception_fp_ieee_overflow 0
		.amdhsa_exception_fp_ieee_underflow 0
		.amdhsa_exception_fp_ieee_inexact 0
		.amdhsa_exception_int_div_zero 0
	.end_amdhsa_kernel
	.section	.text._Z13topk_moe_cudaILi4ELb1EEvPKfPfPiS2_iiff15topk_moe_config,"axG",@progbits,_Z13topk_moe_cudaILi4ELb1EEvPKfPfPiS2_iiff15topk_moe_config,comdat
.Lfunc_end2:
	.size	_Z13topk_moe_cudaILi4ELb1EEvPKfPfPiS2_iiff15topk_moe_config, .Lfunc_end2-_Z13topk_moe_cudaILi4ELb1EEvPKfPfPiS2_iiff15topk_moe_config
                                        ; -- End function
	.section	.AMDGPU.csdata,"",@progbits
; Kernel info:
; codeLenInByte = 3096
; NumSgprs: 22
; NumVgprs: 23
; ScratchSize: 0
; MemoryBound: 0
; FloatMode: 240
; IeeeMode: 1
; LDSByteSize: 0 bytes/workgroup (compile time only)
; SGPRBlocks: 2
; VGPRBlocks: 2
; NumSGPRsForWavesPerEU: 22
; NumVGPRsForWavesPerEU: 23
; Occupancy: 16
; WaveLimiterHint : 0
; COMPUTE_PGM_RSRC2:SCRATCH_EN: 0
; COMPUTE_PGM_RSRC2:USER_SGPR: 15
; COMPUTE_PGM_RSRC2:TRAP_HANDLER: 0
; COMPUTE_PGM_RSRC2:TGID_X_EN: 1
; COMPUTE_PGM_RSRC2:TGID_Y_EN: 0
; COMPUTE_PGM_RSRC2:TGID_Z_EN: 0
; COMPUTE_PGM_RSRC2:TIDIG_COMP_CNT: 1
	.section	.text._Z13topk_moe_cudaILi8ELb1EEvPKfPfPiS2_iiff15topk_moe_config,"axG",@progbits,_Z13topk_moe_cudaILi8ELb1EEvPKfPfPiS2_iiff15topk_moe_config,comdat
	.protected	_Z13topk_moe_cudaILi8ELb1EEvPKfPfPiS2_iiff15topk_moe_config ; -- Begin function _Z13topk_moe_cudaILi8ELb1EEvPKfPfPiS2_iiff15topk_moe_config
	.globl	_Z13topk_moe_cudaILi8ELb1EEvPKfPfPiS2_iiff15topk_moe_config
	.p2align	8
	.type	_Z13topk_moe_cudaILi8ELb1EEvPKfPfPiS2_iiff15topk_moe_config,@function
_Z13topk_moe_cudaILi8ELb1EEvPKfPfPiS2_iiff15topk_moe_config: ; @_Z13topk_moe_cudaILi8ELb1EEvPKfPfPiS2_iiff15topk_moe_config
; %bb.0:
	s_clause 0x1
	s_load_b32 s2, s[0:1], 0x44
	s_load_b128 s[16:19], s[0:1], 0x20
	v_bfe_u32 v3, v0, 10, 10
	s_waitcnt lgkmcnt(0)
	s_lshr_b32 s2, s2, 16
	s_delay_alu instid0(VALU_DEP_1) | instid1(SALU_CYCLE_1)
	v_mad_u64_u32 v[1:2], null, s15, s2, v[3:4]
	s_mov_b32 s2, exec_lo
	s_delay_alu instid0(VALU_DEP_1)
	v_cmpx_gt_i32_e64 s16, v1
	s_cbranch_execz .LBB3_43
; %bb.1:
	v_mov_b32_e32 v2, 0
	s_load_b256 s[4:11], s[0:1], 0x0
	s_clause 0x1
	global_load_u16 v3, v2, s[0:1] offset:48
	global_load_u8 v6, v2, s[0:1] offset:50
	v_mov_b32_e32 v5, 0xff800000
	s_waitcnt vmcnt(1)
	v_lshrrev_b32_e32 v2, 8, v3
	v_and_b32_e32 v3, 0xff, v3
	s_waitcnt vmcnt(0)
	v_readfirstlane_b32 s2, v6
	s_delay_alu instid0(VALU_DEP_3) | instskip(SKIP_1) | instid1(VALU_DEP_3)
	v_lshlrev_b16 v4, 8, v2
	v_lshlrev_b32_e32 v2, 3, v1
	s_lshl_b32 s2, s2, 16
	s_delay_alu instid0(VALU_DEP_2) | instskip(NEXT) | instid1(VALU_DEP_2)
	v_or_b32_e32 v7, v3, v4
	v_ashrrev_i32_e32 v3, 31, v2
	v_and_b32_e32 v4, 0x3ff, v0
	s_delay_alu instid0(VALU_DEP_3) | instskip(NEXT) | instid1(VALU_DEP_3)
	v_readfirstlane_b32 s1, v7
	v_lshlrev_b64 v[2:3], 2, v[2:3]
	s_delay_alu instid0(VALU_DEP_3) | instskip(SKIP_1) | instid1(VALU_DEP_4)
	v_cmp_gt_u32_e64 s0, 8, v4
	v_lshlrev_b32_e32 v0, 2, v4
	s_and_b32 s1, 0xffff, s1
	s_delay_alu instid0(SALU_CYCLE_1) | instskip(NEXT) | instid1(VALU_DEP_2)
	s_or_b32 s2, s1, s2
	s_and_saveexec_b32 s1, s0
	s_cbranch_execz .LBB3_3
; %bb.2:
	s_waitcnt lgkmcnt(0)
	v_add_co_u32 v5, vcc_lo, s4, v2
	v_add_co_ci_u32_e32 v6, vcc_lo, s5, v3, vcc_lo
	s_delay_alu instid0(VALU_DEP_2) | instskip(NEXT) | instid1(VALU_DEP_2)
	v_add_co_u32 v5, vcc_lo, v5, v0
	v_add_co_ci_u32_e32 v6, vcc_lo, 0, v6, vcc_lo
	global_load_b32 v5, v[5:6], off
.LBB3_3:
	s_or_b32 exec_lo, exec_lo, s1
	s_bitcmp1_b32 s2, 16
	s_cselect_b32 s1, -1, 0
	s_delay_alu instid0(SALU_CYCLE_1)
	s_and_b32 vcc_lo, exec_lo, s1
	s_cbranch_vccnz .LBB3_9
; %bb.4:
	s_bitcmp0_b32 s2, 0
	s_mov_b32 s3, 0
	s_cbranch_scc0 .LBB3_6
; %bb.5:
	v_mbcnt_lo_u32_b32 v6, -1, 0
	s_delay_alu instid0(VALU_DEP_1)
	v_xor_b32_e32 v7, 16, v6
	v_xor_b32_e32 v10, 8, v6
	;; [unrolled: 1-line block ×5, first 2 shown]
	v_cmp_gt_i32_e32 vcc_lo, 32, v7
	s_waitcnt vmcnt(0)
	v_dual_max_f32 v8, v5, v5 :: v_dual_cndmask_b32 v7, v6, v7
	s_delay_alu instid0(VALU_DEP_1) | instskip(SKIP_1) | instid1(VALU_DEP_3)
	v_max_f32_e32 v8, 0xff800000, v8
	v_cmp_gt_i32_e32 vcc_lo, 32, v10
	v_lshlrev_b32_e32 v7, 2, v7
	ds_bpermute_b32 v9, v7, v8
	v_cndmask_b32_e32 v10, v6, v10, vcc_lo
	v_cmp_gt_i32_e32 vcc_lo, 32, v11
	v_cndmask_b32_e32 v11, v6, v11, vcc_lo
	v_cmp_gt_i32_e32 vcc_lo, 32, v12
	s_delay_alu instid0(VALU_DEP_2) | instskip(SKIP_1) | instid1(VALU_DEP_2)
	v_dual_cndmask_b32 v12, v6, v12 :: v_dual_lshlrev_b32 v11, 2, v11
	v_cmp_gt_i32_e32 vcc_lo, 32, v13
	v_lshlrev_b32_e32 v12, 2, v12
	v_cndmask_b32_e32 v6, v6, v13, vcc_lo
	s_waitcnt lgkmcnt(0)
	v_dual_max_f32 v9, v9, v9 :: v_dual_lshlrev_b32 v10, 2, v10
	s_delay_alu instid0(VALU_DEP_2) | instskip(NEXT) | instid1(VALU_DEP_2)
	v_lshlrev_b32_e32 v6, 2, v6
	v_max_f32_e32 v8, v8, v9
	ds_bpermute_b32 v9, v10, v8
	s_waitcnt lgkmcnt(0)
	v_max_f32_e32 v9, v9, v9
	s_delay_alu instid0(VALU_DEP_1) | instskip(SKIP_3) | instid1(VALU_DEP_1)
	v_max_f32_e32 v8, v8, v9
	ds_bpermute_b32 v9, v11, v8
	s_waitcnt lgkmcnt(0)
	v_max_f32_e32 v9, v9, v9
	v_max_f32_e32 v8, v8, v9
	ds_bpermute_b32 v9, v12, v8
	s_waitcnt lgkmcnt(0)
	v_max_f32_e32 v9, v9, v9
	s_delay_alu instid0(VALU_DEP_1) | instskip(SKIP_3) | instid1(VALU_DEP_1)
	v_max_f32_e32 v8, v8, v9
	ds_bpermute_b32 v9, v6, v8
	s_waitcnt lgkmcnt(0)
	v_max_f32_e32 v9, v9, v9
	v_max_f32_e32 v8, v8, v9
	s_delay_alu instid0(VALU_DEP_1) | instskip(NEXT) | instid1(VALU_DEP_1)
	v_sub_f32_e32 v8, v5, v8
	v_mul_f32_e32 v9, 0x3fb8aa3b, v8
	v_cmp_ngt_f32_e32 vcc_lo, 0xc2ce8ed0, v8
	s_delay_alu instid0(VALU_DEP_2) | instskip(SKIP_1) | instid1(VALU_DEP_2)
	v_fma_f32 v13, 0x3fb8aa3b, v8, -v9
	v_rndne_f32_e32 v14, v9
	v_fmamk_f32 v13, v8, 0x32a5705f, v13
	s_delay_alu instid0(VALU_DEP_2) | instskip(NEXT) | instid1(VALU_DEP_1)
	v_sub_f32_e32 v9, v9, v14
	v_add_f32_e32 v9, v9, v13
	v_cvt_i32_f32_e32 v13, v14
	s_delay_alu instid0(VALU_DEP_2) | instskip(SKIP_2) | instid1(VALU_DEP_1)
	v_exp_f32_e32 v9, v9
	s_waitcnt_depctr 0xfff
	v_ldexp_f32 v9, v9, v13
	v_cndmask_b32_e32 v9, 0, v9, vcc_lo
	v_cmp_nlt_f32_e32 vcc_lo, 0x42b17218, v8
	s_delay_alu instid0(VALU_DEP_2)
	v_cndmask_b32_e32 v8, 0x7f800000, v9, vcc_lo
	ds_bpermute_b32 v7, v7, v8
	s_waitcnt lgkmcnt(0)
	v_add_f32_e32 v7, v8, v7
	ds_bpermute_b32 v9, v10, v7
	s_waitcnt lgkmcnt(0)
	v_add_f32_e32 v7, v7, v9
	ds_bpermute_b32 v9, v11, v7
	s_waitcnt lgkmcnt(0)
	v_add_f32_e32 v7, v7, v9
	ds_bpermute_b32 v9, v12, v7
	s_waitcnt lgkmcnt(0)
	v_add_f32_e32 v7, v7, v9
	ds_bpermute_b32 v6, v6, v7
	s_waitcnt lgkmcnt(0)
	v_add_f32_e32 v6, v7, v6
	s_delay_alu instid0(VALU_DEP_1) | instskip(NEXT) | instid1(VALU_DEP_1)
	v_div_scale_f32 v7, null, v6, v6, 1.0
	v_rcp_f32_e32 v9, v7
	s_waitcnt_depctr 0xfff
	v_fma_f32 v10, -v7, v9, 1.0
	s_delay_alu instid0(VALU_DEP_1) | instskip(SKIP_1) | instid1(VALU_DEP_1)
	v_fmac_f32_e32 v9, v10, v9
	v_div_scale_f32 v10, vcc_lo, 1.0, v6, 1.0
	v_mul_f32_e32 v11, v10, v9
	s_delay_alu instid0(VALU_DEP_1) | instskip(NEXT) | instid1(VALU_DEP_1)
	v_fma_f32 v12, -v7, v11, v10
	v_fmac_f32_e32 v11, v12, v9
	s_delay_alu instid0(VALU_DEP_1) | instskip(NEXT) | instid1(VALU_DEP_1)
	v_fma_f32 v7, -v7, v11, v10
	v_div_fmas_f32 v7, v7, v9, v11
	s_delay_alu instid0(VALU_DEP_1) | instskip(NEXT) | instid1(VALU_DEP_1)
	v_div_fixup_f32 v6, v7, v6, 1.0
	v_mul_f32_e32 v6, v8, v6
	s_and_not1_b32 vcc_lo, exec_lo, s3
	s_cbranch_vccz .LBB3_7
	s_branch .LBB3_8
.LBB3_6:
                                        ; implicit-def: $vgpr6
.LBB3_7:
	s_waitcnt vmcnt(0)
	v_mul_f32_e32 v6, 0xbfb8aa3b, v5
	v_cmp_nlt_f32_e32 vcc_lo, 0x42ce8ed0, v5
	s_delay_alu instid0(VALU_DEP_2) | instskip(SKIP_1) | instid1(VALU_DEP_2)
	v_rndne_f32_e32 v7, v6
	v_fma_f32 v8, 0xbfb8aa3b, v5, -v6
	v_sub_f32_e32 v6, v6, v7
	s_delay_alu instid0(VALU_DEP_2) | instskip(SKIP_1) | instid1(VALU_DEP_2)
	v_fmamk_f32 v8, v5, 0xb2a5705f, v8
	v_cvt_i32_f32_e32 v7, v7
	v_add_f32_e32 v6, v6, v8
	s_delay_alu instid0(VALU_DEP_1) | instskip(SKIP_2) | instid1(VALU_DEP_1)
	v_exp_f32_e32 v6, v6
	s_waitcnt_depctr 0xfff
	v_ldexp_f32 v6, v6, v7
	v_cndmask_b32_e32 v6, 0, v6, vcc_lo
	v_cmp_ngt_f32_e32 vcc_lo, 0xc2b17218, v5
	s_delay_alu instid0(VALU_DEP_2) | instskip(NEXT) | instid1(VALU_DEP_1)
	v_cndmask_b32_e32 v5, 0x7f800000, v6, vcc_lo
	v_add_f32_e32 v5, 1.0, v5
	s_delay_alu instid0(VALU_DEP_1) | instskip(NEXT) | instid1(VALU_DEP_1)
	v_div_scale_f32 v6, null, v5, v5, 1.0
	v_rcp_f32_e32 v7, v6
	s_waitcnt_depctr 0xfff
	v_fma_f32 v8, -v6, v7, 1.0
	s_delay_alu instid0(VALU_DEP_1) | instskip(SKIP_1) | instid1(VALU_DEP_1)
	v_fmac_f32_e32 v7, v8, v7
	v_div_scale_f32 v8, vcc_lo, 1.0, v5, 1.0
	v_mul_f32_e32 v9, v8, v7
	s_delay_alu instid0(VALU_DEP_1) | instskip(NEXT) | instid1(VALU_DEP_1)
	v_fma_f32 v10, -v6, v9, v8
	v_fmac_f32_e32 v9, v10, v7
	s_delay_alu instid0(VALU_DEP_1) | instskip(NEXT) | instid1(VALU_DEP_1)
	v_fma_f32 v6, -v6, v9, v8
	v_div_fmas_f32 v6, v6, v7, v9
	s_delay_alu instid0(VALU_DEP_1)
	v_div_fixup_f32 v6, v6, v5, 1.0
.LBB3_8:
	s_waitcnt vmcnt(0)
	s_delay_alu instid0(VALU_DEP_1)
	v_mov_b32_e32 v5, v6
.LBB3_9:
	s_waitcnt vmcnt(0)
	s_delay_alu instid0(VALU_DEP_1)
	v_cmp_o_f32_e32 vcc_lo, v5, v5
	v_mov_b32_e32 v8, 0xff800000
	v_cndmask_b32_e32 v7, 0xff7fffff, v5, vcc_lo
	s_and_saveexec_b32 s3, s0
	s_cbranch_execz .LBB3_11
; %bb.10:
	s_waitcnt lgkmcnt(0)
	global_load_b32 v5, v0, s[10:11]
	s_waitcnt vmcnt(0)
	v_add_f32_e32 v8, v7, v5
.LBB3_11:
	s_or_b32 exec_lo, exec_lo, s3
	s_lshr_b32 s0, s2, 8
	s_cmp_gt_i32 s17, 0
	s_mov_b32 s3, 0
	s_cbranch_scc1 .LBB3_13
; %bb.12:
	s_bitcmp1_b32 s0, 0
	s_waitcnt lgkmcnt(0)
	s_mov_b32 s4, 0
	s_cselect_b32 s2, -1, 0
	s_branch .LBB3_14
.LBB3_13:
	s_mov_b32 s3, -1
                                        ; implicit-def: $sgpr4
                                        ; implicit-def: $sgpr2
.LBB3_14:
	s_waitcnt lgkmcnt(0)
	v_dual_mov_b32 v9, s4 :: v_dual_mov_b32 v6, s4
	v_mbcnt_lo_u32_b32 v5, -1, 0
	s_and_not1_b32 vcc_lo, exec_lo, s3
	s_cbranch_vccnz .LBB3_39
; %bb.15:
	s_delay_alu instid0(VALU_DEP_1) | instskip(SKIP_3) | instid1(VALU_DEP_4)
	v_xor_b32_e32 v6, 16, v5
	v_add_co_u32 v2, vcc_lo, s8, v2
	v_add_co_ci_u32_e32 v3, vcc_lo, s9, v3, vcc_lo
	v_xor_b32_e32 v9, 8, v5
	v_cmp_gt_i32_e32 vcc_lo, 32, v6
	v_xor_b32_e32 v10, 4, v5
	v_xor_b32_e32 v11, 2, v5
	v_xor_b32_e32 v12, 1, v5
	s_bitcmp1_b32 s0, 0
	v_cndmask_b32_e32 v6, v5, v6, vcc_lo
	v_cmp_gt_i32_e32 vcc_lo, 32, v9
	s_mov_b32 s3, 0
	s_cselect_b32 s2, -1, 0
	v_cndmask_b32_e32 v9, v5, v9, vcc_lo
	v_cmp_gt_i32_e32 vcc_lo, 32, v10
	v_cndmask_b32_e32 v13, v5, v10, vcc_lo
	v_cmp_gt_i32_e32 vcc_lo, 32, v11
	;; [unrolled: 2-line block ×3, first 2 shown]
	v_lshlrev_b32_e32 v11, 2, v9
	v_dual_mov_b32 v9, 0 :: v_dual_lshlrev_b32 v10, 2, v6
	v_dual_mov_b32 v6, 0 :: v_dual_cndmask_b32 v15, v5, v12
	v_lshlrev_b32_e32 v12, 2, v13
	v_lshlrev_b32_e32 v13, 2, v14
	s_delay_alu instid0(VALU_DEP_3)
	v_lshlrev_b32_e32 v14, 2, v15
	s_branch .LBB3_17
.LBB3_16:                               ;   in Loop: Header=BB3_17 Depth=1
	s_or_b32 exec_lo, exec_lo, s0
	s_and_b32 s0, s3, 31
	v_cndmask_b32_e64 v8, v8, 0xff800000, vcc_lo
	v_cmp_eq_u32_e32 vcc_lo, s0, v4
	s_add_i32 s3, s3, 1
	s_delay_alu instid0(SALU_CYCLE_1)
	s_cmp_eq_u32 s17, s3
	v_cndmask_b32_e32 v6, v6, v15, vcc_lo
	v_add_co_u32 v2, vcc_lo, v2, 4
	v_add_co_ci_u32_e32 v3, vcc_lo, 0, v3, vcc_lo
	s_cbranch_scc1 .LBB3_39
.LBB3_17:                               ; =>This Inner Loop Header: Depth=1
	ds_bpermute_b32 v20, v10, v8
	ds_bpermute_b32 v21, v10, v7
	;; [unrolled: 1-line block ×3, first 2 shown]
	s_mov_b32 s5, exec_lo
                                        ; implicit-def: $vgpr17
	s_waitcnt lgkmcnt(2)
	v_cmp_lt_f32_e64 s4, v8, v20
	v_cmpx_nlt_f32_e32 v8, v20
	s_cbranch_execz .LBB3_19
; %bb.18:                               ;   in Loop: Header=BB3_17 Depth=1
	v_cmp_eq_f32_e32 vcc_lo, v8, v20
	s_waitcnt lgkmcnt(0)
	v_cmp_lt_i32_e64 s0, v22, v4
	v_mov_b32_e32 v17, v8
	s_and_not1_b32 s4, s4, exec_lo
	s_delay_alu instid0(VALU_DEP_2) | instskip(NEXT) | instid1(SALU_CYCLE_1)
	s_and_b32 s0, vcc_lo, s0
	s_and_b32 s0, s0, exec_lo
	s_delay_alu instid0(SALU_CYCLE_1)
	s_or_b32 s4, s4, s0
.LBB3_19:                               ;   in Loop: Header=BB3_17 Depth=1
	s_or_b32 exec_lo, exec_lo, s5
	v_dual_mov_b32 v18, v7 :: v_dual_mov_b32 v19, v8
	v_dual_mov_b32 v15, v7 :: v_dual_mov_b32 v16, v4
	s_and_saveexec_b32 s0, s4
	s_cbranch_execz .LBB3_21
; %bb.20:                               ;   in Loop: Header=BB3_17 Depth=1
	s_waitcnt lgkmcnt(1)
	v_dual_mov_b32 v17, v20 :: v_dual_mov_b32 v18, v21
	s_waitcnt lgkmcnt(0)
	v_dual_mov_b32 v15, v21 :: v_dual_mov_b32 v16, v22
	v_mov_b32_e32 v19, v20
.LBB3_21:                               ;   in Loop: Header=BB3_17 Depth=1
	s_or_b32 exec_lo, exec_lo, s0
	ds_bpermute_b32 v20, v11, v17
	s_waitcnt lgkmcnt(1)
	ds_bpermute_b32 v22, v11, v18
	ds_bpermute_b32 v21, v11, v16
	s_mov_b32 s5, exec_lo
	s_waitcnt lgkmcnt(2)
	v_cmp_lt_f32_e64 s4, v19, v20
	v_cmpx_nlt_f32_e32 v19, v20
	s_cbranch_execz .LBB3_23
; %bb.22:                               ;   in Loop: Header=BB3_17 Depth=1
	v_cmp_eq_f32_e32 vcc_lo, v19, v20
	s_waitcnt lgkmcnt(0)
	v_cmp_lt_i32_e64 s0, v21, v16
	s_and_not1_b32 s4, s4, exec_lo
	s_delay_alu instid0(VALU_DEP_1) | instskip(NEXT) | instid1(SALU_CYCLE_1)
	s_and_b32 s0, vcc_lo, s0
	s_and_b32 s0, s0, exec_lo
	s_delay_alu instid0(SALU_CYCLE_1)
	s_or_b32 s4, s4, s0
.LBB3_23:                               ;   in Loop: Header=BB3_17 Depth=1
	s_or_b32 exec_lo, exec_lo, s5
	s_delay_alu instid0(VALU_DEP_2)
	s_and_saveexec_b32 s0, s4
	s_cbranch_execz .LBB3_25
; %bb.24:                               ;   in Loop: Header=BB3_17 Depth=1
	s_waitcnt lgkmcnt(1)
	v_dual_mov_b32 v17, v20 :: v_dual_mov_b32 v18, v22
	s_waitcnt lgkmcnt(0)
	v_dual_mov_b32 v15, v22 :: v_dual_mov_b32 v16, v21
	v_mov_b32_e32 v19, v20
.LBB3_25:                               ;   in Loop: Header=BB3_17 Depth=1
	s_or_b32 exec_lo, exec_lo, s0
	ds_bpermute_b32 v20, v12, v17
	s_waitcnt lgkmcnt(2)
	ds_bpermute_b32 v22, v12, v18
	s_waitcnt lgkmcnt(2)
	ds_bpermute_b32 v21, v12, v16
	s_mov_b32 s5, exec_lo
	s_waitcnt lgkmcnt(2)
	v_cmp_lt_f32_e64 s4, v19, v20
	v_cmpx_nlt_f32_e32 v19, v20
	s_cbranch_execz .LBB3_27
; %bb.26:                               ;   in Loop: Header=BB3_17 Depth=1
	v_cmp_eq_f32_e32 vcc_lo, v19, v20
	s_waitcnt lgkmcnt(0)
	v_cmp_lt_i32_e64 s0, v21, v16
	s_and_not1_b32 s4, s4, exec_lo
	s_delay_alu instid0(VALU_DEP_1) | instskip(NEXT) | instid1(SALU_CYCLE_1)
	s_and_b32 s0, vcc_lo, s0
	s_and_b32 s0, s0, exec_lo
	s_delay_alu instid0(SALU_CYCLE_1)
	s_or_b32 s4, s4, s0
.LBB3_27:                               ;   in Loop: Header=BB3_17 Depth=1
	s_or_b32 exec_lo, exec_lo, s5
	s_delay_alu instid0(VALU_DEP_2)
	s_and_saveexec_b32 s0, s4
	s_cbranch_execz .LBB3_29
; %bb.28:                               ;   in Loop: Header=BB3_17 Depth=1
	s_waitcnt lgkmcnt(1)
	v_dual_mov_b32 v17, v20 :: v_dual_mov_b32 v18, v22
	s_waitcnt lgkmcnt(0)
	v_dual_mov_b32 v15, v22 :: v_dual_mov_b32 v16, v21
	v_mov_b32_e32 v19, v20
.LBB3_29:                               ;   in Loop: Header=BB3_17 Depth=1
	s_or_b32 exec_lo, exec_lo, s0
	ds_bpermute_b32 v20, v13, v17
	s_waitcnt lgkmcnt(2)
	ds_bpermute_b32 v22, v13, v18
	s_waitcnt lgkmcnt(2)
	ds_bpermute_b32 v21, v13, v16
	s_mov_b32 s5, exec_lo
	s_waitcnt lgkmcnt(2)
	v_cmp_lt_f32_e64 s4, v19, v20
	v_cmpx_nlt_f32_e32 v19, v20
	s_cbranch_execz .LBB3_31
; %bb.30:                               ;   in Loop: Header=BB3_17 Depth=1
	v_cmp_eq_f32_e32 vcc_lo, v19, v20
	s_waitcnt lgkmcnt(0)
	v_cmp_lt_i32_e64 s0, v21, v16
	s_and_not1_b32 s4, s4, exec_lo
	s_delay_alu instid0(VALU_DEP_1) | instskip(NEXT) | instid1(SALU_CYCLE_1)
	s_and_b32 s0, vcc_lo, s0
	s_and_b32 s0, s0, exec_lo
	s_delay_alu instid0(SALU_CYCLE_1)
	s_or_b32 s4, s4, s0
.LBB3_31:                               ;   in Loop: Header=BB3_17 Depth=1
	s_or_b32 exec_lo, exec_lo, s5
	s_delay_alu instid0(VALU_DEP_2)
	s_and_saveexec_b32 s0, s4
	s_cbranch_execz .LBB3_33
; %bb.32:                               ;   in Loop: Header=BB3_17 Depth=1
	s_waitcnt lgkmcnt(1)
	v_dual_mov_b32 v17, v20 :: v_dual_mov_b32 v18, v22
	s_waitcnt lgkmcnt(0)
	v_dual_mov_b32 v15, v22 :: v_dual_mov_b32 v16, v21
	v_mov_b32_e32 v19, v20
.LBB3_33:                               ;   in Loop: Header=BB3_17 Depth=1
	s_or_b32 exec_lo, exec_lo, s0
	ds_bpermute_b32 v20, v14, v17
	ds_bpermute_b32 v18, v14, v18
	;; [unrolled: 1-line block ×3, first 2 shown]
	s_mov_b32 s5, exec_lo
	s_waitcnt lgkmcnt(2)
	v_cmp_lt_f32_e64 s4, v19, v20
	v_cmpx_nlt_f32_e32 v19, v20
	s_cbranch_execz .LBB3_35
; %bb.34:                               ;   in Loop: Header=BB3_17 Depth=1
	v_cmp_eq_f32_e32 vcc_lo, v19, v20
	s_waitcnt lgkmcnt(0)
	v_cmp_lt_i32_e64 s0, v17, v16
	s_and_not1_b32 s4, s4, exec_lo
	s_delay_alu instid0(VALU_DEP_1) | instskip(NEXT) | instid1(SALU_CYCLE_1)
	s_and_b32 s0, vcc_lo, s0
	s_and_b32 s0, s0, exec_lo
	s_delay_alu instid0(SALU_CYCLE_1)
	s_or_b32 s4, s4, s0
.LBB3_35:                               ;   in Loop: Header=BB3_17 Depth=1
	s_or_b32 exec_lo, exec_lo, s5
	s_delay_alu instid0(VALU_DEP_2)
	s_and_saveexec_b32 s0, s4
	s_cbranch_execz .LBB3_37
; %bb.36:                               ;   in Loop: Header=BB3_17 Depth=1
	s_waitcnt lgkmcnt(0)
	v_dual_mov_b32 v15, v18 :: v_dual_mov_b32 v16, v17
.LBB3_37:                               ;   in Loop: Header=BB3_17 Depth=1
	s_or_b32 exec_lo, exec_lo, s0
	s_waitcnt lgkmcnt(0)
	s_delay_alu instid0(VALU_DEP_1) | instskip(NEXT) | instid1(VALU_DEP_1)
	v_and_b32_e32 v17, 31, v16
	v_cmp_eq_u32_e32 vcc_lo, v17, v4
	s_and_saveexec_b32 s0, vcc_lo
	s_cbranch_execz .LBB3_16
; %bb.38:                               ;   in Loop: Header=BB3_17 Depth=1
	v_add_f32_e32 v17, v9, v15
	global_store_b32 v[2:3], v16, off
	v_cndmask_b32_e64 v9, v9, v17, s2
	s_branch .LBB3_16
.LBB3_39:
	s_and_b32 vcc_lo, exec_lo, s2
	s_cbranch_vccnz .LBB3_44
; %bb.40:
	v_cmp_gt_i32_e64 s0, s17, v4
	s_and_not1_b32 vcc_lo, exec_lo, s1
	s_cbranch_vccz .LBB3_45
.LBB3_41:
	v_cmp_gt_i32_e32 vcc_lo, s17, v4
	s_and_b32 exec_lo, exec_lo, vcc_lo
	s_cbranch_execz .LBB3_43
.LBB3_42:
	v_mul_lo_u32 v1, v1, s17
	s_delay_alu instid0(VALU_DEP_1) | instskip(NEXT) | instid1(VALU_DEP_1)
	v_ashrrev_i32_e32 v2, 31, v1
	v_lshlrev_b64 v[1:2], 2, v[1:2]
	s_delay_alu instid0(VALU_DEP_1) | instskip(NEXT) | instid1(VALU_DEP_2)
	v_add_co_u32 v1, vcc_lo, s6, v1
	v_add_co_ci_u32_e32 v2, vcc_lo, s7, v2, vcc_lo
	s_delay_alu instid0(VALU_DEP_2) | instskip(NEXT) | instid1(VALU_DEP_2)
	v_add_co_u32 v0, vcc_lo, v1, v0
	v_add_co_ci_u32_e32 v1, vcc_lo, 0, v2, vcc_lo
	v_mul_f32_e32 v2, s19, v6
	global_store_b32 v[0:1], v2, off
.LBB3_43:
	s_nop 0
	s_sendmsg sendmsg(MSG_DEALLOC_VGPRS)
	s_endpgm
.LBB3_44:
	v_xor_b32_e32 v2, 16, v5
	v_xor_b32_e32 v3, 8, v5
	;; [unrolled: 1-line block ×3, first 2 shown]
	s_delay_alu instid0(VALU_DEP_3) | instskip(SKIP_1) | instid1(VALU_DEP_4)
	v_cmp_gt_i32_e32 vcc_lo, 32, v2
	v_cndmask_b32_e32 v2, v5, v2, vcc_lo
	v_cmp_gt_i32_e32 vcc_lo, 32, v3
	v_cndmask_b32_e32 v3, v5, v3, vcc_lo
	v_cmp_gt_i32_e32 vcc_lo, 32, v7
	s_delay_alu instid0(VALU_DEP_2)
	v_lshlrev_b32_e32 v3, 2, v3
	v_dual_cndmask_b32 v7, v5, v7 :: v_dual_lshlrev_b32 v2, 2, v2
	ds_bpermute_b32 v2, v2, v9
	s_waitcnt lgkmcnt(0)
	v_dual_add_f32 v2, v9, v2 :: v_dual_lshlrev_b32 v7, 2, v7
	ds_bpermute_b32 v3, v3, v2
	s_waitcnt lgkmcnt(0)
	v_add_f32_e32 v2, v2, v3
	ds_bpermute_b32 v3, v7, v2
	v_xor_b32_e32 v7, 2, v5
	s_delay_alu instid0(VALU_DEP_1) | instskip(SKIP_1) | instid1(VALU_DEP_1)
	v_cmp_gt_i32_e32 vcc_lo, 32, v7
	v_cndmask_b32_e32 v7, v5, v7, vcc_lo
	v_lshlrev_b32_e32 v7, 2, v7
	s_waitcnt lgkmcnt(0)
	v_add_f32_e32 v2, v2, v3
	ds_bpermute_b32 v3, v7, v2
	v_xor_b32_e32 v7, 1, v5
	s_delay_alu instid0(VALU_DEP_1) | instskip(SKIP_1) | instid1(VALU_DEP_1)
	v_cmp_gt_i32_e32 vcc_lo, 32, v7
	v_cndmask_b32_e32 v7, v5, v7, vcc_lo
	v_lshlrev_b32_e32 v7, 2, v7
	s_waitcnt lgkmcnt(0)
	v_add_f32_e32 v2, v2, v3
	ds_bpermute_b32 v3, v7, v2
	v_max_f32_e64 v7, s18, s18
	s_waitcnt lgkmcnt(0)
	v_add_f32_e32 v2, v2, v3
	s_delay_alu instid0(VALU_DEP_1) | instskip(NEXT) | instid1(VALU_DEP_1)
	v_max_f32_e32 v2, v2, v7
	v_div_scale_f32 v3, null, v2, v2, 1.0
	s_delay_alu instid0(VALU_DEP_1) | instskip(SKIP_2) | instid1(VALU_DEP_1)
	v_rcp_f32_e32 v7, v3
	s_waitcnt_depctr 0xfff
	v_fma_f32 v8, -v3, v7, 1.0
	v_fmac_f32_e32 v7, v8, v7
	v_div_scale_f32 v8, vcc_lo, 1.0, v2, 1.0
	s_delay_alu instid0(VALU_DEP_1) | instskip(NEXT) | instid1(VALU_DEP_1)
	v_mul_f32_e32 v9, v8, v7
	v_fma_f32 v10, -v3, v9, v8
	s_delay_alu instid0(VALU_DEP_1) | instskip(NEXT) | instid1(VALU_DEP_1)
	v_fmac_f32_e32 v9, v10, v7
	v_fma_f32 v3, -v3, v9, v8
	s_delay_alu instid0(VALU_DEP_1) | instskip(NEXT) | instid1(VALU_DEP_1)
	v_div_fmas_f32 v3, v3, v7, v9
	v_div_fixup_f32 v2, v3, v2, 1.0
	s_delay_alu instid0(VALU_DEP_1)
	v_mul_f32_e32 v6, v6, v2
	v_cmp_gt_i32_e64 s0, s17, v4
	s_and_not1_b32 vcc_lo, exec_lo, s1
	s_cbranch_vccnz .LBB3_41
.LBB3_45:
	v_xor_b32_e32 v3, 16, v5
	v_xor_b32_e32 v8, 8, v5
	;; [unrolled: 1-line block ×5, first 2 shown]
	v_cmp_gt_i32_e32 vcc_lo, 32, v3
	v_dual_max_f32 v2, v6, v6 :: v_dual_cndmask_b32 v3, v5, v3
	s_delay_alu instid0(VALU_DEP_1) | instskip(SKIP_1) | instid1(VALU_DEP_3)
	v_max_f32_e32 v2, 0xff800000, v2
	v_cmp_gt_i32_e32 vcc_lo, 32, v8
	v_lshlrev_b32_e32 v3, 2, v3
	s_delay_alu instid0(VALU_DEP_3)
	v_cndmask_b32_e64 v2, 0xff800000, v2, s0
	ds_bpermute_b32 v7, v3, v2
	v_cndmask_b32_e32 v8, v5, v8, vcc_lo
	v_cmp_gt_i32_e32 vcc_lo, 32, v9
	v_cndmask_b32_e32 v9, v5, v9, vcc_lo
	v_cmp_gt_i32_e32 vcc_lo, 32, v10
	s_delay_alu instid0(VALU_DEP_2) | instskip(SKIP_1) | instid1(VALU_DEP_2)
	v_dual_cndmask_b32 v10, v5, v10 :: v_dual_lshlrev_b32 v9, 2, v9
	v_cmp_gt_i32_e32 vcc_lo, 32, v11
	v_dual_cndmask_b32 v5, v5, v11 :: v_dual_lshlrev_b32 v10, 2, v10
	s_waitcnt lgkmcnt(0)
	v_dual_max_f32 v7, v7, v7 :: v_dual_lshlrev_b32 v8, 2, v8
	s_delay_alu instid0(VALU_DEP_1) | instskip(SKIP_3) | instid1(VALU_DEP_1)
	v_dual_max_f32 v2, v2, v7 :: v_dual_lshlrev_b32 v5, 2, v5
	ds_bpermute_b32 v7, v8, v2
	s_waitcnt lgkmcnt(0)
	v_max_f32_e32 v7, v7, v7
	v_max_f32_e32 v2, v2, v7
	ds_bpermute_b32 v7, v9, v2
	s_waitcnt lgkmcnt(0)
	v_max_f32_e32 v7, v7, v7
	s_delay_alu instid0(VALU_DEP_1) | instskip(SKIP_3) | instid1(VALU_DEP_1)
	v_max_f32_e32 v2, v2, v7
	ds_bpermute_b32 v7, v10, v2
	s_waitcnt lgkmcnt(0)
	v_max_f32_e32 v7, v7, v7
	v_max_f32_e32 v2, v2, v7
	ds_bpermute_b32 v7, v5, v2
	s_waitcnt lgkmcnt(0)
	v_max_f32_e32 v7, v7, v7
	s_delay_alu instid0(VALU_DEP_1) | instskip(NEXT) | instid1(VALU_DEP_1)
	v_max_f32_e32 v2, v2, v7
	v_sub_f32_e32 v2, v6, v2
	s_delay_alu instid0(VALU_DEP_1) | instskip(SKIP_1) | instid1(VALU_DEP_2)
	v_mul_f32_e32 v6, 0x3fb8aa3b, v2
	v_cmp_ngt_f32_e32 vcc_lo, 0xc2ce8ed0, v2
	v_fma_f32 v7, 0x3fb8aa3b, v2, -v6
	v_rndne_f32_e32 v11, v6
	s_delay_alu instid0(VALU_DEP_2) | instskip(NEXT) | instid1(VALU_DEP_2)
	v_fmamk_f32 v7, v2, 0x32a5705f, v7
	v_sub_f32_e32 v6, v6, v11
	s_delay_alu instid0(VALU_DEP_1) | instskip(SKIP_1) | instid1(VALU_DEP_2)
	v_add_f32_e32 v6, v6, v7
	v_cvt_i32_f32_e32 v7, v11
	v_exp_f32_e32 v6, v6
	s_waitcnt_depctr 0xfff
	v_ldexp_f32 v6, v6, v7
	s_delay_alu instid0(VALU_DEP_1) | instskip(SKIP_1) | instid1(VALU_DEP_2)
	v_cndmask_b32_e32 v6, 0, v6, vcc_lo
	v_cmp_nlt_f32_e32 vcc_lo, 0x42b17218, v2
	v_cndmask_b32_e32 v2, 0x7f800000, v6, vcc_lo
	s_delay_alu instid0(VALU_DEP_1)
	v_cndmask_b32_e64 v6, 0, v2, s0
	ds_bpermute_b32 v3, v3, v6
	s_waitcnt lgkmcnt(0)
	v_add_f32_e32 v3, v6, v3
	ds_bpermute_b32 v6, v8, v3
	s_waitcnt lgkmcnt(0)
	v_add_f32_e32 v3, v3, v6
	;; [unrolled: 3-line block ×3, first 2 shown]
	ds_bpermute_b32 v6, v10, v3
	s_waitcnt lgkmcnt(0)
	v_dual_add_f32 v3, v3, v6 :: v_dual_mov_b32 v6, 0
	ds_bpermute_b32 v5, v5, v3
	s_and_saveexec_b32 s1, s0
	s_cbranch_execz .LBB3_47
; %bb.46:
	s_waitcnt lgkmcnt(0)
	v_add_f32_e32 v3, v3, v5
	s_delay_alu instid0(VALU_DEP_1) | instskip(NEXT) | instid1(VALU_DEP_1)
	v_div_scale_f32 v5, null, v3, v3, 1.0
	v_rcp_f32_e32 v6, v5
	s_waitcnt_depctr 0xfff
	v_fma_f32 v7, -v5, v6, 1.0
	s_delay_alu instid0(VALU_DEP_1) | instskip(SKIP_1) | instid1(VALU_DEP_1)
	v_fmac_f32_e32 v6, v7, v6
	v_div_scale_f32 v7, vcc_lo, 1.0, v3, 1.0
	v_mul_f32_e32 v8, v7, v6
	s_delay_alu instid0(VALU_DEP_1) | instskip(NEXT) | instid1(VALU_DEP_1)
	v_fma_f32 v9, -v5, v8, v7
	v_fmac_f32_e32 v8, v9, v6
	s_delay_alu instid0(VALU_DEP_1) | instskip(NEXT) | instid1(VALU_DEP_1)
	v_fma_f32 v5, -v5, v8, v7
	v_div_fmas_f32 v5, v5, v6, v8
	s_delay_alu instid0(VALU_DEP_1) | instskip(NEXT) | instid1(VALU_DEP_1)
	v_div_fixup_f32 v3, v5, v3, 1.0
	v_mul_f32_e32 v6, v2, v3
.LBB3_47:
	s_or_b32 exec_lo, exec_lo, s1
	v_cmp_gt_i32_e32 vcc_lo, s17, v4
	s_and_b32 exec_lo, exec_lo, vcc_lo
	s_cbranch_execnz .LBB3_42
	s_branch .LBB3_43
	.section	.rodata,"a",@progbits
	.p2align	6, 0x0
	.amdhsa_kernel _Z13topk_moe_cudaILi8ELb1EEvPKfPfPiS2_iiff15topk_moe_config
		.amdhsa_group_segment_fixed_size 0
		.amdhsa_private_segment_fixed_size 0
		.amdhsa_kernarg_size 312
		.amdhsa_user_sgpr_count 15
		.amdhsa_user_sgpr_dispatch_ptr 0
		.amdhsa_user_sgpr_queue_ptr 0
		.amdhsa_user_sgpr_kernarg_segment_ptr 1
		.amdhsa_user_sgpr_dispatch_id 0
		.amdhsa_user_sgpr_private_segment_size 0
		.amdhsa_wavefront_size32 1
		.amdhsa_uses_dynamic_stack 0
		.amdhsa_enable_private_segment 0
		.amdhsa_system_sgpr_workgroup_id_x 1
		.amdhsa_system_sgpr_workgroup_id_y 0
		.amdhsa_system_sgpr_workgroup_id_z 0
		.amdhsa_system_sgpr_workgroup_info 0
		.amdhsa_system_vgpr_workitem_id 1
		.amdhsa_next_free_vgpr 23
		.amdhsa_next_free_sgpr 20
		.amdhsa_reserve_vcc 1
		.amdhsa_float_round_mode_32 0
		.amdhsa_float_round_mode_16_64 0
		.amdhsa_float_denorm_mode_32 3
		.amdhsa_float_denorm_mode_16_64 3
		.amdhsa_dx10_clamp 1
		.amdhsa_ieee_mode 1
		.amdhsa_fp16_overflow 0
		.amdhsa_workgroup_processor_mode 1
		.amdhsa_memory_ordered 1
		.amdhsa_forward_progress 0
		.amdhsa_shared_vgpr_count 0
		.amdhsa_exception_fp_ieee_invalid_op 0
		.amdhsa_exception_fp_denorm_src 0
		.amdhsa_exception_fp_ieee_div_zero 0
		.amdhsa_exception_fp_ieee_overflow 0
		.amdhsa_exception_fp_ieee_underflow 0
		.amdhsa_exception_fp_ieee_inexact 0
		.amdhsa_exception_int_div_zero 0
	.end_amdhsa_kernel
	.section	.text._Z13topk_moe_cudaILi8ELb1EEvPKfPfPiS2_iiff15topk_moe_config,"axG",@progbits,_Z13topk_moe_cudaILi8ELb1EEvPKfPfPiS2_iiff15topk_moe_config,comdat
.Lfunc_end3:
	.size	_Z13topk_moe_cudaILi8ELb1EEvPKfPfPiS2_iiff15topk_moe_config, .Lfunc_end3-_Z13topk_moe_cudaILi8ELb1EEvPKfPfPiS2_iiff15topk_moe_config
                                        ; -- End function
	.section	.AMDGPU.csdata,"",@progbits
; Kernel info:
; codeLenInByte = 3096
; NumSgprs: 22
; NumVgprs: 23
; ScratchSize: 0
; MemoryBound: 0
; FloatMode: 240
; IeeeMode: 1
; LDSByteSize: 0 bytes/workgroup (compile time only)
; SGPRBlocks: 2
; VGPRBlocks: 2
; NumSGPRsForWavesPerEU: 22
; NumVGPRsForWavesPerEU: 23
; Occupancy: 16
; WaveLimiterHint : 0
; COMPUTE_PGM_RSRC2:SCRATCH_EN: 0
; COMPUTE_PGM_RSRC2:USER_SGPR: 15
; COMPUTE_PGM_RSRC2:TRAP_HANDLER: 0
; COMPUTE_PGM_RSRC2:TGID_X_EN: 1
; COMPUTE_PGM_RSRC2:TGID_Y_EN: 0
; COMPUTE_PGM_RSRC2:TGID_Z_EN: 0
; COMPUTE_PGM_RSRC2:TIDIG_COMP_CNT: 1
	.section	.text._Z13topk_moe_cudaILi16ELb1EEvPKfPfPiS2_iiff15topk_moe_config,"axG",@progbits,_Z13topk_moe_cudaILi16ELb1EEvPKfPfPiS2_iiff15topk_moe_config,comdat
	.protected	_Z13topk_moe_cudaILi16ELb1EEvPKfPfPiS2_iiff15topk_moe_config ; -- Begin function _Z13topk_moe_cudaILi16ELb1EEvPKfPfPiS2_iiff15topk_moe_config
	.globl	_Z13topk_moe_cudaILi16ELb1EEvPKfPfPiS2_iiff15topk_moe_config
	.p2align	8
	.type	_Z13topk_moe_cudaILi16ELb1EEvPKfPfPiS2_iiff15topk_moe_config,@function
_Z13topk_moe_cudaILi16ELb1EEvPKfPfPiS2_iiff15topk_moe_config: ; @_Z13topk_moe_cudaILi16ELb1EEvPKfPfPiS2_iiff15topk_moe_config
; %bb.0:
	s_clause 0x1
	s_load_b32 s2, s[0:1], 0x44
	s_load_b128 s[16:19], s[0:1], 0x20
	v_bfe_u32 v3, v0, 10, 10
	s_waitcnt lgkmcnt(0)
	s_lshr_b32 s2, s2, 16
	s_delay_alu instid0(VALU_DEP_1) | instid1(SALU_CYCLE_1)
	v_mad_u64_u32 v[1:2], null, s15, s2, v[3:4]
	s_mov_b32 s2, exec_lo
	s_delay_alu instid0(VALU_DEP_1)
	v_cmpx_gt_i32_e64 s16, v1
	s_cbranch_execz .LBB4_43
; %bb.1:
	v_mov_b32_e32 v2, 0
	s_load_b256 s[4:11], s[0:1], 0x0
	s_clause 0x1
	global_load_u16 v3, v2, s[0:1] offset:48
	global_load_u8 v6, v2, s[0:1] offset:50
	v_mov_b32_e32 v5, 0xff800000
	s_waitcnt vmcnt(1)
	v_lshrrev_b32_e32 v2, 8, v3
	v_and_b32_e32 v3, 0xff, v3
	s_waitcnt vmcnt(0)
	v_readfirstlane_b32 s2, v6
	s_delay_alu instid0(VALU_DEP_3) | instskip(SKIP_1) | instid1(VALU_DEP_3)
	v_lshlrev_b16 v4, 8, v2
	v_lshlrev_b32_e32 v2, 4, v1
	s_lshl_b32 s2, s2, 16
	s_delay_alu instid0(VALU_DEP_2) | instskip(NEXT) | instid1(VALU_DEP_2)
	v_or_b32_e32 v7, v3, v4
	v_ashrrev_i32_e32 v3, 31, v2
	v_and_b32_e32 v4, 0x3ff, v0
	s_delay_alu instid0(VALU_DEP_3) | instskip(NEXT) | instid1(VALU_DEP_3)
	v_readfirstlane_b32 s1, v7
	v_lshlrev_b64 v[2:3], 2, v[2:3]
	s_delay_alu instid0(VALU_DEP_3) | instskip(SKIP_1) | instid1(VALU_DEP_4)
	v_cmp_gt_u32_e64 s0, 16, v4
	v_lshlrev_b32_e32 v0, 2, v4
	s_and_b32 s1, 0xffff, s1
	s_delay_alu instid0(SALU_CYCLE_1) | instskip(NEXT) | instid1(VALU_DEP_2)
	s_or_b32 s2, s1, s2
	s_and_saveexec_b32 s1, s0
	s_cbranch_execz .LBB4_3
; %bb.2:
	s_waitcnt lgkmcnt(0)
	v_add_co_u32 v5, vcc_lo, s4, v2
	v_add_co_ci_u32_e32 v6, vcc_lo, s5, v3, vcc_lo
	s_delay_alu instid0(VALU_DEP_2) | instskip(NEXT) | instid1(VALU_DEP_2)
	v_add_co_u32 v5, vcc_lo, v5, v0
	v_add_co_ci_u32_e32 v6, vcc_lo, 0, v6, vcc_lo
	global_load_b32 v5, v[5:6], off
.LBB4_3:
	s_or_b32 exec_lo, exec_lo, s1
	s_bitcmp1_b32 s2, 16
	s_cselect_b32 s1, -1, 0
	s_delay_alu instid0(SALU_CYCLE_1)
	s_and_b32 vcc_lo, exec_lo, s1
	s_cbranch_vccnz .LBB4_9
; %bb.4:
	s_bitcmp0_b32 s2, 0
	s_mov_b32 s3, 0
	s_cbranch_scc0 .LBB4_6
; %bb.5:
	v_mbcnt_lo_u32_b32 v6, -1, 0
	s_delay_alu instid0(VALU_DEP_1)
	v_xor_b32_e32 v7, 16, v6
	v_xor_b32_e32 v10, 8, v6
	;; [unrolled: 1-line block ×5, first 2 shown]
	v_cmp_gt_i32_e32 vcc_lo, 32, v7
	s_waitcnt vmcnt(0)
	v_dual_max_f32 v8, v5, v5 :: v_dual_cndmask_b32 v7, v6, v7
	s_delay_alu instid0(VALU_DEP_1) | instskip(SKIP_1) | instid1(VALU_DEP_3)
	v_max_f32_e32 v8, 0xff800000, v8
	v_cmp_gt_i32_e32 vcc_lo, 32, v10
	v_lshlrev_b32_e32 v7, 2, v7
	ds_bpermute_b32 v9, v7, v8
	v_cndmask_b32_e32 v10, v6, v10, vcc_lo
	v_cmp_gt_i32_e32 vcc_lo, 32, v11
	v_cndmask_b32_e32 v11, v6, v11, vcc_lo
	v_cmp_gt_i32_e32 vcc_lo, 32, v12
	s_delay_alu instid0(VALU_DEP_2) | instskip(SKIP_1) | instid1(VALU_DEP_2)
	v_dual_cndmask_b32 v12, v6, v12 :: v_dual_lshlrev_b32 v11, 2, v11
	v_cmp_gt_i32_e32 vcc_lo, 32, v13
	v_lshlrev_b32_e32 v12, 2, v12
	v_cndmask_b32_e32 v6, v6, v13, vcc_lo
	s_waitcnt lgkmcnt(0)
	v_dual_max_f32 v9, v9, v9 :: v_dual_lshlrev_b32 v10, 2, v10
	s_delay_alu instid0(VALU_DEP_2) | instskip(NEXT) | instid1(VALU_DEP_2)
	v_lshlrev_b32_e32 v6, 2, v6
	v_max_f32_e32 v8, v8, v9
	ds_bpermute_b32 v9, v10, v8
	s_waitcnt lgkmcnt(0)
	v_max_f32_e32 v9, v9, v9
	s_delay_alu instid0(VALU_DEP_1) | instskip(SKIP_3) | instid1(VALU_DEP_1)
	v_max_f32_e32 v8, v8, v9
	ds_bpermute_b32 v9, v11, v8
	s_waitcnt lgkmcnt(0)
	v_max_f32_e32 v9, v9, v9
	v_max_f32_e32 v8, v8, v9
	ds_bpermute_b32 v9, v12, v8
	s_waitcnt lgkmcnt(0)
	v_max_f32_e32 v9, v9, v9
	s_delay_alu instid0(VALU_DEP_1) | instskip(SKIP_3) | instid1(VALU_DEP_1)
	v_max_f32_e32 v8, v8, v9
	ds_bpermute_b32 v9, v6, v8
	s_waitcnt lgkmcnt(0)
	v_max_f32_e32 v9, v9, v9
	v_max_f32_e32 v8, v8, v9
	s_delay_alu instid0(VALU_DEP_1) | instskip(NEXT) | instid1(VALU_DEP_1)
	v_sub_f32_e32 v8, v5, v8
	v_mul_f32_e32 v9, 0x3fb8aa3b, v8
	v_cmp_ngt_f32_e32 vcc_lo, 0xc2ce8ed0, v8
	s_delay_alu instid0(VALU_DEP_2) | instskip(SKIP_1) | instid1(VALU_DEP_2)
	v_fma_f32 v13, 0x3fb8aa3b, v8, -v9
	v_rndne_f32_e32 v14, v9
	v_fmamk_f32 v13, v8, 0x32a5705f, v13
	s_delay_alu instid0(VALU_DEP_2) | instskip(NEXT) | instid1(VALU_DEP_1)
	v_sub_f32_e32 v9, v9, v14
	v_add_f32_e32 v9, v9, v13
	v_cvt_i32_f32_e32 v13, v14
	s_delay_alu instid0(VALU_DEP_2) | instskip(SKIP_2) | instid1(VALU_DEP_1)
	v_exp_f32_e32 v9, v9
	s_waitcnt_depctr 0xfff
	v_ldexp_f32 v9, v9, v13
	v_cndmask_b32_e32 v9, 0, v9, vcc_lo
	v_cmp_nlt_f32_e32 vcc_lo, 0x42b17218, v8
	s_delay_alu instid0(VALU_DEP_2)
	v_cndmask_b32_e32 v8, 0x7f800000, v9, vcc_lo
	ds_bpermute_b32 v7, v7, v8
	s_waitcnt lgkmcnt(0)
	v_add_f32_e32 v7, v8, v7
	ds_bpermute_b32 v9, v10, v7
	s_waitcnt lgkmcnt(0)
	v_add_f32_e32 v7, v7, v9
	;; [unrolled: 3-line block ×5, first 2 shown]
	s_delay_alu instid0(VALU_DEP_1) | instskip(NEXT) | instid1(VALU_DEP_1)
	v_div_scale_f32 v7, null, v6, v6, 1.0
	v_rcp_f32_e32 v9, v7
	s_waitcnt_depctr 0xfff
	v_fma_f32 v10, -v7, v9, 1.0
	s_delay_alu instid0(VALU_DEP_1) | instskip(SKIP_1) | instid1(VALU_DEP_1)
	v_fmac_f32_e32 v9, v10, v9
	v_div_scale_f32 v10, vcc_lo, 1.0, v6, 1.0
	v_mul_f32_e32 v11, v10, v9
	s_delay_alu instid0(VALU_DEP_1) | instskip(NEXT) | instid1(VALU_DEP_1)
	v_fma_f32 v12, -v7, v11, v10
	v_fmac_f32_e32 v11, v12, v9
	s_delay_alu instid0(VALU_DEP_1) | instskip(NEXT) | instid1(VALU_DEP_1)
	v_fma_f32 v7, -v7, v11, v10
	v_div_fmas_f32 v7, v7, v9, v11
	s_delay_alu instid0(VALU_DEP_1) | instskip(NEXT) | instid1(VALU_DEP_1)
	v_div_fixup_f32 v6, v7, v6, 1.0
	v_mul_f32_e32 v6, v8, v6
	s_and_not1_b32 vcc_lo, exec_lo, s3
	s_cbranch_vccz .LBB4_7
	s_branch .LBB4_8
.LBB4_6:
                                        ; implicit-def: $vgpr6
.LBB4_7:
	s_waitcnt vmcnt(0)
	v_mul_f32_e32 v6, 0xbfb8aa3b, v5
	v_cmp_nlt_f32_e32 vcc_lo, 0x42ce8ed0, v5
	s_delay_alu instid0(VALU_DEP_2) | instskip(SKIP_1) | instid1(VALU_DEP_2)
	v_rndne_f32_e32 v7, v6
	v_fma_f32 v8, 0xbfb8aa3b, v5, -v6
	v_sub_f32_e32 v6, v6, v7
	s_delay_alu instid0(VALU_DEP_2) | instskip(SKIP_1) | instid1(VALU_DEP_2)
	v_fmamk_f32 v8, v5, 0xb2a5705f, v8
	v_cvt_i32_f32_e32 v7, v7
	v_add_f32_e32 v6, v6, v8
	s_delay_alu instid0(VALU_DEP_1) | instskip(SKIP_2) | instid1(VALU_DEP_1)
	v_exp_f32_e32 v6, v6
	s_waitcnt_depctr 0xfff
	v_ldexp_f32 v6, v6, v7
	v_cndmask_b32_e32 v6, 0, v6, vcc_lo
	v_cmp_ngt_f32_e32 vcc_lo, 0xc2b17218, v5
	s_delay_alu instid0(VALU_DEP_2) | instskip(NEXT) | instid1(VALU_DEP_1)
	v_cndmask_b32_e32 v5, 0x7f800000, v6, vcc_lo
	v_add_f32_e32 v5, 1.0, v5
	s_delay_alu instid0(VALU_DEP_1) | instskip(NEXT) | instid1(VALU_DEP_1)
	v_div_scale_f32 v6, null, v5, v5, 1.0
	v_rcp_f32_e32 v7, v6
	s_waitcnt_depctr 0xfff
	v_fma_f32 v8, -v6, v7, 1.0
	s_delay_alu instid0(VALU_DEP_1) | instskip(SKIP_1) | instid1(VALU_DEP_1)
	v_fmac_f32_e32 v7, v8, v7
	v_div_scale_f32 v8, vcc_lo, 1.0, v5, 1.0
	v_mul_f32_e32 v9, v8, v7
	s_delay_alu instid0(VALU_DEP_1) | instskip(NEXT) | instid1(VALU_DEP_1)
	v_fma_f32 v10, -v6, v9, v8
	v_fmac_f32_e32 v9, v10, v7
	s_delay_alu instid0(VALU_DEP_1) | instskip(NEXT) | instid1(VALU_DEP_1)
	v_fma_f32 v6, -v6, v9, v8
	v_div_fmas_f32 v6, v6, v7, v9
	s_delay_alu instid0(VALU_DEP_1)
	v_div_fixup_f32 v6, v6, v5, 1.0
.LBB4_8:
	s_waitcnt vmcnt(0)
	s_delay_alu instid0(VALU_DEP_1)
	v_mov_b32_e32 v5, v6
.LBB4_9:
	s_waitcnt vmcnt(0)
	s_delay_alu instid0(VALU_DEP_1)
	v_cmp_o_f32_e32 vcc_lo, v5, v5
	v_mov_b32_e32 v8, 0xff800000
	v_cndmask_b32_e32 v7, 0xff7fffff, v5, vcc_lo
	s_and_saveexec_b32 s3, s0
	s_cbranch_execz .LBB4_11
; %bb.10:
	s_waitcnt lgkmcnt(0)
	global_load_b32 v5, v0, s[10:11]
	s_waitcnt vmcnt(0)
	v_add_f32_e32 v8, v7, v5
.LBB4_11:
	s_or_b32 exec_lo, exec_lo, s3
	s_lshr_b32 s0, s2, 8
	s_cmp_gt_i32 s17, 0
	s_mov_b32 s3, 0
	s_cbranch_scc1 .LBB4_13
; %bb.12:
	s_bitcmp1_b32 s0, 0
	s_waitcnt lgkmcnt(0)
	s_mov_b32 s4, 0
	s_cselect_b32 s2, -1, 0
	s_branch .LBB4_14
.LBB4_13:
	s_mov_b32 s3, -1
                                        ; implicit-def: $sgpr4
                                        ; implicit-def: $sgpr2
.LBB4_14:
	s_waitcnt lgkmcnt(0)
	v_dual_mov_b32 v9, s4 :: v_dual_mov_b32 v6, s4
	v_mbcnt_lo_u32_b32 v5, -1, 0
	s_and_not1_b32 vcc_lo, exec_lo, s3
	s_cbranch_vccnz .LBB4_39
; %bb.15:
	s_delay_alu instid0(VALU_DEP_1) | instskip(SKIP_3) | instid1(VALU_DEP_4)
	v_xor_b32_e32 v6, 16, v5
	v_add_co_u32 v2, vcc_lo, s8, v2
	v_add_co_ci_u32_e32 v3, vcc_lo, s9, v3, vcc_lo
	v_xor_b32_e32 v9, 8, v5
	v_cmp_gt_i32_e32 vcc_lo, 32, v6
	v_xor_b32_e32 v10, 4, v5
	v_xor_b32_e32 v11, 2, v5
	;; [unrolled: 1-line block ×3, first 2 shown]
	s_bitcmp1_b32 s0, 0
	v_cndmask_b32_e32 v6, v5, v6, vcc_lo
	v_cmp_gt_i32_e32 vcc_lo, 32, v9
	s_mov_b32 s3, 0
	s_cselect_b32 s2, -1, 0
	v_cndmask_b32_e32 v9, v5, v9, vcc_lo
	v_cmp_gt_i32_e32 vcc_lo, 32, v10
	v_cndmask_b32_e32 v13, v5, v10, vcc_lo
	v_cmp_gt_i32_e32 vcc_lo, 32, v11
	;; [unrolled: 2-line block ×3, first 2 shown]
	v_lshlrev_b32_e32 v11, 2, v9
	v_dual_mov_b32 v9, 0 :: v_dual_lshlrev_b32 v10, 2, v6
	v_dual_mov_b32 v6, 0 :: v_dual_cndmask_b32 v15, v5, v12
	v_lshlrev_b32_e32 v12, 2, v13
	v_lshlrev_b32_e32 v13, 2, v14
	s_delay_alu instid0(VALU_DEP_3)
	v_lshlrev_b32_e32 v14, 2, v15
	s_branch .LBB4_17
.LBB4_16:                               ;   in Loop: Header=BB4_17 Depth=1
	s_or_b32 exec_lo, exec_lo, s0
	s_and_b32 s0, s3, 31
	v_cndmask_b32_e64 v8, v8, 0xff800000, vcc_lo
	v_cmp_eq_u32_e32 vcc_lo, s0, v4
	s_add_i32 s3, s3, 1
	s_delay_alu instid0(SALU_CYCLE_1)
	s_cmp_eq_u32 s17, s3
	v_cndmask_b32_e32 v6, v6, v15, vcc_lo
	v_add_co_u32 v2, vcc_lo, v2, 4
	v_add_co_ci_u32_e32 v3, vcc_lo, 0, v3, vcc_lo
	s_cbranch_scc1 .LBB4_39
.LBB4_17:                               ; =>This Inner Loop Header: Depth=1
	ds_bpermute_b32 v20, v10, v8
	ds_bpermute_b32 v21, v10, v7
	ds_bpermute_b32 v22, v10, v4
	s_mov_b32 s5, exec_lo
                                        ; implicit-def: $vgpr17
	s_waitcnt lgkmcnt(2)
	v_cmp_lt_f32_e64 s4, v8, v20
	v_cmpx_nlt_f32_e32 v8, v20
	s_cbranch_execz .LBB4_19
; %bb.18:                               ;   in Loop: Header=BB4_17 Depth=1
	v_cmp_eq_f32_e32 vcc_lo, v8, v20
	s_waitcnt lgkmcnt(0)
	v_cmp_lt_i32_e64 s0, v22, v4
	v_mov_b32_e32 v17, v8
	s_and_not1_b32 s4, s4, exec_lo
	s_delay_alu instid0(VALU_DEP_2) | instskip(NEXT) | instid1(SALU_CYCLE_1)
	s_and_b32 s0, vcc_lo, s0
	s_and_b32 s0, s0, exec_lo
	s_delay_alu instid0(SALU_CYCLE_1)
	s_or_b32 s4, s4, s0
.LBB4_19:                               ;   in Loop: Header=BB4_17 Depth=1
	s_or_b32 exec_lo, exec_lo, s5
	v_dual_mov_b32 v18, v7 :: v_dual_mov_b32 v19, v8
	v_dual_mov_b32 v15, v7 :: v_dual_mov_b32 v16, v4
	s_and_saveexec_b32 s0, s4
	s_cbranch_execz .LBB4_21
; %bb.20:                               ;   in Loop: Header=BB4_17 Depth=1
	s_waitcnt lgkmcnt(1)
	v_dual_mov_b32 v17, v20 :: v_dual_mov_b32 v18, v21
	s_waitcnt lgkmcnt(0)
	v_dual_mov_b32 v15, v21 :: v_dual_mov_b32 v16, v22
	v_mov_b32_e32 v19, v20
.LBB4_21:                               ;   in Loop: Header=BB4_17 Depth=1
	s_or_b32 exec_lo, exec_lo, s0
	ds_bpermute_b32 v20, v11, v17
	s_waitcnt lgkmcnt(1)
	ds_bpermute_b32 v22, v11, v18
	ds_bpermute_b32 v21, v11, v16
	s_mov_b32 s5, exec_lo
	s_waitcnt lgkmcnt(2)
	v_cmp_lt_f32_e64 s4, v19, v20
	v_cmpx_nlt_f32_e32 v19, v20
	s_cbranch_execz .LBB4_23
; %bb.22:                               ;   in Loop: Header=BB4_17 Depth=1
	v_cmp_eq_f32_e32 vcc_lo, v19, v20
	s_waitcnt lgkmcnt(0)
	v_cmp_lt_i32_e64 s0, v21, v16
	s_and_not1_b32 s4, s4, exec_lo
	s_delay_alu instid0(VALU_DEP_1) | instskip(NEXT) | instid1(SALU_CYCLE_1)
	s_and_b32 s0, vcc_lo, s0
	s_and_b32 s0, s0, exec_lo
	s_delay_alu instid0(SALU_CYCLE_1)
	s_or_b32 s4, s4, s0
.LBB4_23:                               ;   in Loop: Header=BB4_17 Depth=1
	s_or_b32 exec_lo, exec_lo, s5
	s_delay_alu instid0(VALU_DEP_2)
	s_and_saveexec_b32 s0, s4
	s_cbranch_execz .LBB4_25
; %bb.24:                               ;   in Loop: Header=BB4_17 Depth=1
	s_waitcnt lgkmcnt(1)
	v_dual_mov_b32 v17, v20 :: v_dual_mov_b32 v18, v22
	s_waitcnt lgkmcnt(0)
	v_dual_mov_b32 v15, v22 :: v_dual_mov_b32 v16, v21
	v_mov_b32_e32 v19, v20
.LBB4_25:                               ;   in Loop: Header=BB4_17 Depth=1
	s_or_b32 exec_lo, exec_lo, s0
	ds_bpermute_b32 v20, v12, v17
	s_waitcnt lgkmcnt(2)
	ds_bpermute_b32 v22, v12, v18
	s_waitcnt lgkmcnt(2)
	ds_bpermute_b32 v21, v12, v16
	s_mov_b32 s5, exec_lo
	s_waitcnt lgkmcnt(2)
	v_cmp_lt_f32_e64 s4, v19, v20
	v_cmpx_nlt_f32_e32 v19, v20
	s_cbranch_execz .LBB4_27
; %bb.26:                               ;   in Loop: Header=BB4_17 Depth=1
	v_cmp_eq_f32_e32 vcc_lo, v19, v20
	s_waitcnt lgkmcnt(0)
	v_cmp_lt_i32_e64 s0, v21, v16
	s_and_not1_b32 s4, s4, exec_lo
	s_delay_alu instid0(VALU_DEP_1) | instskip(NEXT) | instid1(SALU_CYCLE_1)
	s_and_b32 s0, vcc_lo, s0
	s_and_b32 s0, s0, exec_lo
	s_delay_alu instid0(SALU_CYCLE_1)
	s_or_b32 s4, s4, s0
.LBB4_27:                               ;   in Loop: Header=BB4_17 Depth=1
	s_or_b32 exec_lo, exec_lo, s5
	s_delay_alu instid0(VALU_DEP_2)
	s_and_saveexec_b32 s0, s4
	s_cbranch_execz .LBB4_29
; %bb.28:                               ;   in Loop: Header=BB4_17 Depth=1
	s_waitcnt lgkmcnt(1)
	v_dual_mov_b32 v17, v20 :: v_dual_mov_b32 v18, v22
	s_waitcnt lgkmcnt(0)
	v_dual_mov_b32 v15, v22 :: v_dual_mov_b32 v16, v21
	v_mov_b32_e32 v19, v20
.LBB4_29:                               ;   in Loop: Header=BB4_17 Depth=1
	s_or_b32 exec_lo, exec_lo, s0
	ds_bpermute_b32 v20, v13, v17
	s_waitcnt lgkmcnt(2)
	ds_bpermute_b32 v22, v13, v18
	s_waitcnt lgkmcnt(2)
	ds_bpermute_b32 v21, v13, v16
	s_mov_b32 s5, exec_lo
	s_waitcnt lgkmcnt(2)
	v_cmp_lt_f32_e64 s4, v19, v20
	v_cmpx_nlt_f32_e32 v19, v20
	s_cbranch_execz .LBB4_31
; %bb.30:                               ;   in Loop: Header=BB4_17 Depth=1
	v_cmp_eq_f32_e32 vcc_lo, v19, v20
	s_waitcnt lgkmcnt(0)
	v_cmp_lt_i32_e64 s0, v21, v16
	s_and_not1_b32 s4, s4, exec_lo
	s_delay_alu instid0(VALU_DEP_1) | instskip(NEXT) | instid1(SALU_CYCLE_1)
	s_and_b32 s0, vcc_lo, s0
	s_and_b32 s0, s0, exec_lo
	s_delay_alu instid0(SALU_CYCLE_1)
	s_or_b32 s4, s4, s0
.LBB4_31:                               ;   in Loop: Header=BB4_17 Depth=1
	s_or_b32 exec_lo, exec_lo, s5
	s_delay_alu instid0(VALU_DEP_2)
	s_and_saveexec_b32 s0, s4
	s_cbranch_execz .LBB4_33
; %bb.32:                               ;   in Loop: Header=BB4_17 Depth=1
	s_waitcnt lgkmcnt(1)
	v_dual_mov_b32 v17, v20 :: v_dual_mov_b32 v18, v22
	s_waitcnt lgkmcnt(0)
	v_dual_mov_b32 v15, v22 :: v_dual_mov_b32 v16, v21
	v_mov_b32_e32 v19, v20
.LBB4_33:                               ;   in Loop: Header=BB4_17 Depth=1
	s_or_b32 exec_lo, exec_lo, s0
	ds_bpermute_b32 v20, v14, v17
	ds_bpermute_b32 v18, v14, v18
	;; [unrolled: 1-line block ×3, first 2 shown]
	s_mov_b32 s5, exec_lo
	s_waitcnt lgkmcnt(2)
	v_cmp_lt_f32_e64 s4, v19, v20
	v_cmpx_nlt_f32_e32 v19, v20
	s_cbranch_execz .LBB4_35
; %bb.34:                               ;   in Loop: Header=BB4_17 Depth=1
	v_cmp_eq_f32_e32 vcc_lo, v19, v20
	s_waitcnt lgkmcnt(0)
	v_cmp_lt_i32_e64 s0, v17, v16
	s_and_not1_b32 s4, s4, exec_lo
	s_delay_alu instid0(VALU_DEP_1) | instskip(NEXT) | instid1(SALU_CYCLE_1)
	s_and_b32 s0, vcc_lo, s0
	s_and_b32 s0, s0, exec_lo
	s_delay_alu instid0(SALU_CYCLE_1)
	s_or_b32 s4, s4, s0
.LBB4_35:                               ;   in Loop: Header=BB4_17 Depth=1
	s_or_b32 exec_lo, exec_lo, s5
	s_delay_alu instid0(VALU_DEP_2)
	s_and_saveexec_b32 s0, s4
	s_cbranch_execz .LBB4_37
; %bb.36:                               ;   in Loop: Header=BB4_17 Depth=1
	s_waitcnt lgkmcnt(0)
	v_dual_mov_b32 v15, v18 :: v_dual_mov_b32 v16, v17
.LBB4_37:                               ;   in Loop: Header=BB4_17 Depth=1
	s_or_b32 exec_lo, exec_lo, s0
	s_waitcnt lgkmcnt(0)
	s_delay_alu instid0(VALU_DEP_1) | instskip(NEXT) | instid1(VALU_DEP_1)
	v_and_b32_e32 v17, 31, v16
	v_cmp_eq_u32_e32 vcc_lo, v17, v4
	s_and_saveexec_b32 s0, vcc_lo
	s_cbranch_execz .LBB4_16
; %bb.38:                               ;   in Loop: Header=BB4_17 Depth=1
	v_add_f32_e32 v17, v9, v15
	global_store_b32 v[2:3], v16, off
	v_cndmask_b32_e64 v9, v9, v17, s2
	s_branch .LBB4_16
.LBB4_39:
	s_and_b32 vcc_lo, exec_lo, s2
	s_cbranch_vccnz .LBB4_44
; %bb.40:
	v_cmp_gt_i32_e64 s0, s17, v4
	s_and_not1_b32 vcc_lo, exec_lo, s1
	s_cbranch_vccz .LBB4_45
.LBB4_41:
	v_cmp_gt_i32_e32 vcc_lo, s17, v4
	s_and_b32 exec_lo, exec_lo, vcc_lo
	s_cbranch_execz .LBB4_43
.LBB4_42:
	v_mul_lo_u32 v1, v1, s17
	s_delay_alu instid0(VALU_DEP_1) | instskip(NEXT) | instid1(VALU_DEP_1)
	v_ashrrev_i32_e32 v2, 31, v1
	v_lshlrev_b64 v[1:2], 2, v[1:2]
	s_delay_alu instid0(VALU_DEP_1) | instskip(NEXT) | instid1(VALU_DEP_2)
	v_add_co_u32 v1, vcc_lo, s6, v1
	v_add_co_ci_u32_e32 v2, vcc_lo, s7, v2, vcc_lo
	s_delay_alu instid0(VALU_DEP_2) | instskip(NEXT) | instid1(VALU_DEP_2)
	v_add_co_u32 v0, vcc_lo, v1, v0
	v_add_co_ci_u32_e32 v1, vcc_lo, 0, v2, vcc_lo
	v_mul_f32_e32 v2, s19, v6
	global_store_b32 v[0:1], v2, off
.LBB4_43:
	s_nop 0
	s_sendmsg sendmsg(MSG_DEALLOC_VGPRS)
	s_endpgm
.LBB4_44:
	v_xor_b32_e32 v2, 16, v5
	v_xor_b32_e32 v3, 8, v5
	;; [unrolled: 1-line block ×3, first 2 shown]
	s_delay_alu instid0(VALU_DEP_3) | instskip(SKIP_1) | instid1(VALU_DEP_4)
	v_cmp_gt_i32_e32 vcc_lo, 32, v2
	v_cndmask_b32_e32 v2, v5, v2, vcc_lo
	v_cmp_gt_i32_e32 vcc_lo, 32, v3
	v_cndmask_b32_e32 v3, v5, v3, vcc_lo
	v_cmp_gt_i32_e32 vcc_lo, 32, v7
	s_delay_alu instid0(VALU_DEP_2)
	v_lshlrev_b32_e32 v3, 2, v3
	v_dual_cndmask_b32 v7, v5, v7 :: v_dual_lshlrev_b32 v2, 2, v2
	ds_bpermute_b32 v2, v2, v9
	s_waitcnt lgkmcnt(0)
	v_dual_add_f32 v2, v9, v2 :: v_dual_lshlrev_b32 v7, 2, v7
	ds_bpermute_b32 v3, v3, v2
	s_waitcnt lgkmcnt(0)
	v_add_f32_e32 v2, v2, v3
	ds_bpermute_b32 v3, v7, v2
	v_xor_b32_e32 v7, 2, v5
	s_delay_alu instid0(VALU_DEP_1) | instskip(SKIP_1) | instid1(VALU_DEP_1)
	v_cmp_gt_i32_e32 vcc_lo, 32, v7
	v_cndmask_b32_e32 v7, v5, v7, vcc_lo
	v_lshlrev_b32_e32 v7, 2, v7
	s_waitcnt lgkmcnt(0)
	v_add_f32_e32 v2, v2, v3
	ds_bpermute_b32 v3, v7, v2
	v_xor_b32_e32 v7, 1, v5
	s_delay_alu instid0(VALU_DEP_1) | instskip(SKIP_1) | instid1(VALU_DEP_1)
	v_cmp_gt_i32_e32 vcc_lo, 32, v7
	v_cndmask_b32_e32 v7, v5, v7, vcc_lo
	v_lshlrev_b32_e32 v7, 2, v7
	s_waitcnt lgkmcnt(0)
	v_add_f32_e32 v2, v2, v3
	ds_bpermute_b32 v3, v7, v2
	v_max_f32_e64 v7, s18, s18
	s_waitcnt lgkmcnt(0)
	v_add_f32_e32 v2, v2, v3
	s_delay_alu instid0(VALU_DEP_1) | instskip(NEXT) | instid1(VALU_DEP_1)
	v_max_f32_e32 v2, v2, v7
	v_div_scale_f32 v3, null, v2, v2, 1.0
	s_delay_alu instid0(VALU_DEP_1) | instskip(SKIP_2) | instid1(VALU_DEP_1)
	v_rcp_f32_e32 v7, v3
	s_waitcnt_depctr 0xfff
	v_fma_f32 v8, -v3, v7, 1.0
	v_fmac_f32_e32 v7, v8, v7
	v_div_scale_f32 v8, vcc_lo, 1.0, v2, 1.0
	s_delay_alu instid0(VALU_DEP_1) | instskip(NEXT) | instid1(VALU_DEP_1)
	v_mul_f32_e32 v9, v8, v7
	v_fma_f32 v10, -v3, v9, v8
	s_delay_alu instid0(VALU_DEP_1) | instskip(NEXT) | instid1(VALU_DEP_1)
	v_fmac_f32_e32 v9, v10, v7
	v_fma_f32 v3, -v3, v9, v8
	s_delay_alu instid0(VALU_DEP_1) | instskip(NEXT) | instid1(VALU_DEP_1)
	v_div_fmas_f32 v3, v3, v7, v9
	v_div_fixup_f32 v2, v3, v2, 1.0
	s_delay_alu instid0(VALU_DEP_1)
	v_mul_f32_e32 v6, v6, v2
	v_cmp_gt_i32_e64 s0, s17, v4
	s_and_not1_b32 vcc_lo, exec_lo, s1
	s_cbranch_vccnz .LBB4_41
.LBB4_45:
	v_xor_b32_e32 v3, 16, v5
	v_xor_b32_e32 v8, 8, v5
	;; [unrolled: 1-line block ×5, first 2 shown]
	v_cmp_gt_i32_e32 vcc_lo, 32, v3
	v_dual_max_f32 v2, v6, v6 :: v_dual_cndmask_b32 v3, v5, v3
	s_delay_alu instid0(VALU_DEP_1) | instskip(SKIP_1) | instid1(VALU_DEP_3)
	v_max_f32_e32 v2, 0xff800000, v2
	v_cmp_gt_i32_e32 vcc_lo, 32, v8
	v_lshlrev_b32_e32 v3, 2, v3
	s_delay_alu instid0(VALU_DEP_3)
	v_cndmask_b32_e64 v2, 0xff800000, v2, s0
	ds_bpermute_b32 v7, v3, v2
	v_cndmask_b32_e32 v8, v5, v8, vcc_lo
	v_cmp_gt_i32_e32 vcc_lo, 32, v9
	v_cndmask_b32_e32 v9, v5, v9, vcc_lo
	v_cmp_gt_i32_e32 vcc_lo, 32, v10
	s_delay_alu instid0(VALU_DEP_2) | instskip(SKIP_1) | instid1(VALU_DEP_2)
	v_dual_cndmask_b32 v10, v5, v10 :: v_dual_lshlrev_b32 v9, 2, v9
	v_cmp_gt_i32_e32 vcc_lo, 32, v11
	v_dual_cndmask_b32 v5, v5, v11 :: v_dual_lshlrev_b32 v10, 2, v10
	s_waitcnt lgkmcnt(0)
	v_dual_max_f32 v7, v7, v7 :: v_dual_lshlrev_b32 v8, 2, v8
	s_delay_alu instid0(VALU_DEP_1) | instskip(SKIP_3) | instid1(VALU_DEP_1)
	v_dual_max_f32 v2, v2, v7 :: v_dual_lshlrev_b32 v5, 2, v5
	ds_bpermute_b32 v7, v8, v2
	s_waitcnt lgkmcnt(0)
	v_max_f32_e32 v7, v7, v7
	v_max_f32_e32 v2, v2, v7
	ds_bpermute_b32 v7, v9, v2
	s_waitcnt lgkmcnt(0)
	v_max_f32_e32 v7, v7, v7
	s_delay_alu instid0(VALU_DEP_1) | instskip(SKIP_3) | instid1(VALU_DEP_1)
	v_max_f32_e32 v2, v2, v7
	ds_bpermute_b32 v7, v10, v2
	s_waitcnt lgkmcnt(0)
	v_max_f32_e32 v7, v7, v7
	v_max_f32_e32 v2, v2, v7
	ds_bpermute_b32 v7, v5, v2
	s_waitcnt lgkmcnt(0)
	v_max_f32_e32 v7, v7, v7
	s_delay_alu instid0(VALU_DEP_1) | instskip(NEXT) | instid1(VALU_DEP_1)
	v_max_f32_e32 v2, v2, v7
	v_sub_f32_e32 v2, v6, v2
	s_delay_alu instid0(VALU_DEP_1) | instskip(SKIP_1) | instid1(VALU_DEP_2)
	v_mul_f32_e32 v6, 0x3fb8aa3b, v2
	v_cmp_ngt_f32_e32 vcc_lo, 0xc2ce8ed0, v2
	v_fma_f32 v7, 0x3fb8aa3b, v2, -v6
	v_rndne_f32_e32 v11, v6
	s_delay_alu instid0(VALU_DEP_2) | instskip(NEXT) | instid1(VALU_DEP_2)
	v_fmamk_f32 v7, v2, 0x32a5705f, v7
	v_sub_f32_e32 v6, v6, v11
	s_delay_alu instid0(VALU_DEP_1) | instskip(SKIP_1) | instid1(VALU_DEP_2)
	v_add_f32_e32 v6, v6, v7
	v_cvt_i32_f32_e32 v7, v11
	v_exp_f32_e32 v6, v6
	s_waitcnt_depctr 0xfff
	v_ldexp_f32 v6, v6, v7
	s_delay_alu instid0(VALU_DEP_1) | instskip(SKIP_1) | instid1(VALU_DEP_2)
	v_cndmask_b32_e32 v6, 0, v6, vcc_lo
	v_cmp_nlt_f32_e32 vcc_lo, 0x42b17218, v2
	v_cndmask_b32_e32 v2, 0x7f800000, v6, vcc_lo
	s_delay_alu instid0(VALU_DEP_1)
	v_cndmask_b32_e64 v6, 0, v2, s0
	ds_bpermute_b32 v3, v3, v6
	s_waitcnt lgkmcnt(0)
	v_add_f32_e32 v3, v6, v3
	ds_bpermute_b32 v6, v8, v3
	s_waitcnt lgkmcnt(0)
	v_add_f32_e32 v3, v3, v6
	;; [unrolled: 3-line block ×3, first 2 shown]
	ds_bpermute_b32 v6, v10, v3
	s_waitcnt lgkmcnt(0)
	v_dual_add_f32 v3, v3, v6 :: v_dual_mov_b32 v6, 0
	ds_bpermute_b32 v5, v5, v3
	s_and_saveexec_b32 s1, s0
	s_cbranch_execz .LBB4_47
; %bb.46:
	s_waitcnt lgkmcnt(0)
	v_add_f32_e32 v3, v3, v5
	s_delay_alu instid0(VALU_DEP_1) | instskip(NEXT) | instid1(VALU_DEP_1)
	v_div_scale_f32 v5, null, v3, v3, 1.0
	v_rcp_f32_e32 v6, v5
	s_waitcnt_depctr 0xfff
	v_fma_f32 v7, -v5, v6, 1.0
	s_delay_alu instid0(VALU_DEP_1) | instskip(SKIP_1) | instid1(VALU_DEP_1)
	v_fmac_f32_e32 v6, v7, v6
	v_div_scale_f32 v7, vcc_lo, 1.0, v3, 1.0
	v_mul_f32_e32 v8, v7, v6
	s_delay_alu instid0(VALU_DEP_1) | instskip(NEXT) | instid1(VALU_DEP_1)
	v_fma_f32 v9, -v5, v8, v7
	v_fmac_f32_e32 v8, v9, v6
	s_delay_alu instid0(VALU_DEP_1) | instskip(NEXT) | instid1(VALU_DEP_1)
	v_fma_f32 v5, -v5, v8, v7
	v_div_fmas_f32 v5, v5, v6, v8
	s_delay_alu instid0(VALU_DEP_1) | instskip(NEXT) | instid1(VALU_DEP_1)
	v_div_fixup_f32 v3, v5, v3, 1.0
	v_mul_f32_e32 v6, v2, v3
.LBB4_47:
	s_or_b32 exec_lo, exec_lo, s1
	v_cmp_gt_i32_e32 vcc_lo, s17, v4
	s_and_b32 exec_lo, exec_lo, vcc_lo
	s_cbranch_execnz .LBB4_42
	s_branch .LBB4_43
	.section	.rodata,"a",@progbits
	.p2align	6, 0x0
	.amdhsa_kernel _Z13topk_moe_cudaILi16ELb1EEvPKfPfPiS2_iiff15topk_moe_config
		.amdhsa_group_segment_fixed_size 0
		.amdhsa_private_segment_fixed_size 0
		.amdhsa_kernarg_size 312
		.amdhsa_user_sgpr_count 15
		.amdhsa_user_sgpr_dispatch_ptr 0
		.amdhsa_user_sgpr_queue_ptr 0
		.amdhsa_user_sgpr_kernarg_segment_ptr 1
		.amdhsa_user_sgpr_dispatch_id 0
		.amdhsa_user_sgpr_private_segment_size 0
		.amdhsa_wavefront_size32 1
		.amdhsa_uses_dynamic_stack 0
		.amdhsa_enable_private_segment 0
		.amdhsa_system_sgpr_workgroup_id_x 1
		.amdhsa_system_sgpr_workgroup_id_y 0
		.amdhsa_system_sgpr_workgroup_id_z 0
		.amdhsa_system_sgpr_workgroup_info 0
		.amdhsa_system_vgpr_workitem_id 1
		.amdhsa_next_free_vgpr 23
		.amdhsa_next_free_sgpr 20
		.amdhsa_reserve_vcc 1
		.amdhsa_float_round_mode_32 0
		.amdhsa_float_round_mode_16_64 0
		.amdhsa_float_denorm_mode_32 3
		.amdhsa_float_denorm_mode_16_64 3
		.amdhsa_dx10_clamp 1
		.amdhsa_ieee_mode 1
		.amdhsa_fp16_overflow 0
		.amdhsa_workgroup_processor_mode 1
		.amdhsa_memory_ordered 1
		.amdhsa_forward_progress 0
		.amdhsa_shared_vgpr_count 0
		.amdhsa_exception_fp_ieee_invalid_op 0
		.amdhsa_exception_fp_denorm_src 0
		.amdhsa_exception_fp_ieee_div_zero 0
		.amdhsa_exception_fp_ieee_overflow 0
		.amdhsa_exception_fp_ieee_underflow 0
		.amdhsa_exception_fp_ieee_inexact 0
		.amdhsa_exception_int_div_zero 0
	.end_amdhsa_kernel
	.section	.text._Z13topk_moe_cudaILi16ELb1EEvPKfPfPiS2_iiff15topk_moe_config,"axG",@progbits,_Z13topk_moe_cudaILi16ELb1EEvPKfPfPiS2_iiff15topk_moe_config,comdat
.Lfunc_end4:
	.size	_Z13topk_moe_cudaILi16ELb1EEvPKfPfPiS2_iiff15topk_moe_config, .Lfunc_end4-_Z13topk_moe_cudaILi16ELb1EEvPKfPfPiS2_iiff15topk_moe_config
                                        ; -- End function
	.section	.AMDGPU.csdata,"",@progbits
; Kernel info:
; codeLenInByte = 3096
; NumSgprs: 22
; NumVgprs: 23
; ScratchSize: 0
; MemoryBound: 0
; FloatMode: 240
; IeeeMode: 1
; LDSByteSize: 0 bytes/workgroup (compile time only)
; SGPRBlocks: 2
; VGPRBlocks: 2
; NumSGPRsForWavesPerEU: 22
; NumVGPRsForWavesPerEU: 23
; Occupancy: 16
; WaveLimiterHint : 0
; COMPUTE_PGM_RSRC2:SCRATCH_EN: 0
; COMPUTE_PGM_RSRC2:USER_SGPR: 15
; COMPUTE_PGM_RSRC2:TRAP_HANDLER: 0
; COMPUTE_PGM_RSRC2:TGID_X_EN: 1
; COMPUTE_PGM_RSRC2:TGID_Y_EN: 0
; COMPUTE_PGM_RSRC2:TGID_Z_EN: 0
; COMPUTE_PGM_RSRC2:TIDIG_COMP_CNT: 1
	.section	.text._Z13topk_moe_cudaILi32ELb1EEvPKfPfPiS2_iiff15topk_moe_config,"axG",@progbits,_Z13topk_moe_cudaILi32ELb1EEvPKfPfPiS2_iiff15topk_moe_config,comdat
	.protected	_Z13topk_moe_cudaILi32ELb1EEvPKfPfPiS2_iiff15topk_moe_config ; -- Begin function _Z13topk_moe_cudaILi32ELb1EEvPKfPfPiS2_iiff15topk_moe_config
	.globl	_Z13topk_moe_cudaILi32ELb1EEvPKfPfPiS2_iiff15topk_moe_config
	.p2align	8
	.type	_Z13topk_moe_cudaILi32ELb1EEvPKfPfPiS2_iiff15topk_moe_config,@function
_Z13topk_moe_cudaILi32ELb1EEvPKfPfPiS2_iiff15topk_moe_config: ; @_Z13topk_moe_cudaILi32ELb1EEvPKfPfPiS2_iiff15topk_moe_config
; %bb.0:
	s_clause 0x1
	s_load_b32 s2, s[0:1], 0x44
	s_load_b128 s[16:19], s[0:1], 0x20
	v_bfe_u32 v3, v0, 10, 10
	s_waitcnt lgkmcnt(0)
	s_lshr_b32 s2, s2, 16
	s_delay_alu instid0(VALU_DEP_1) | instid1(SALU_CYCLE_1)
	v_mad_u64_u32 v[1:2], null, s15, s2, v[3:4]
	s_mov_b32 s2, exec_lo
	s_delay_alu instid0(VALU_DEP_1)
	v_cmpx_gt_i32_e64 s16, v1
	s_cbranch_execz .LBB5_39
; %bb.1:
	s_load_b256 s[4:11], s[0:1], 0x0
	v_lshlrev_b32_e32 v2, 5, v1
	v_and_b32_e32 v4, 0x3ff, v0
	v_mov_b32_e32 v8, 0
	s_delay_alu instid0(VALU_DEP_3) | instskip(NEXT) | instid1(VALU_DEP_3)
	v_ashrrev_i32_e32 v3, 31, v2
	v_lshlrev_b32_e32 v0, 2, v4
	s_delay_alu instid0(VALU_DEP_2) | instskip(SKIP_1) | instid1(VALU_DEP_1)
	v_lshlrev_b64 v[2:3], 2, v[2:3]
	s_waitcnt lgkmcnt(0)
	v_add_co_u32 v5, vcc_lo, s4, v2
	s_delay_alu instid0(VALU_DEP_2) | instskip(NEXT) | instid1(VALU_DEP_2)
	v_add_co_ci_u32_e32 v7, vcc_lo, s5, v3, vcc_lo
	v_add_co_u32 v6, vcc_lo, v5, v0
	s_delay_alu instid0(VALU_DEP_2)
	v_add_co_ci_u32_e32 v7, vcc_lo, 0, v7, vcc_lo
	global_load_u16 v5, v8, s[0:1] offset:48
	global_load_b32 v8, v[6:7], off
	s_load_b32 s0, s[0:1], 0x30
	s_waitcnt lgkmcnt(0)
	s_bitcmp1_b32 s0, 16
	s_cselect_b32 s1, -1, 0
	s_delay_alu instid0(SALU_CYCLE_1)
	s_and_b32 vcc_lo, exec_lo, s1
	s_cbranch_vccnz .LBB5_7
; %bb.2:
	s_waitcnt vmcnt(1)
	v_and_b32_e32 v6, 1, v5
	s_delay_alu instid0(VALU_DEP_1)
	v_cmp_eq_u32_e32 vcc_lo, 0, v6
	s_cbranch_vccz .LBB5_4
; %bb.3:
	v_mbcnt_lo_u32_b32 v6, -1, 0
	s_waitcnt vmcnt(0)
	v_max_f32_e32 v9, v8, v8
	s_delay_alu instid0(VALU_DEP_2)
	v_xor_b32_e32 v7, 16, v6
	v_xor_b32_e32 v11, 8, v6
	;; [unrolled: 1-line block ×5, first 2 shown]
	v_cmp_gt_i32_e32 vcc_lo, 32, v7
	v_cndmask_b32_e32 v7, v6, v7, vcc_lo
	v_cmp_gt_i32_e32 vcc_lo, 32, v11
	v_cndmask_b32_e32 v11, v6, v11, vcc_lo
	v_cmp_gt_i32_e32 vcc_lo, 32, v12
	v_dual_max_f32 v9, 0xff800000, v9 :: v_dual_cndmask_b32 v12, v6, v12
	v_cmp_gt_i32_e32 vcc_lo, 32, v13
	s_delay_alu instid0(VALU_DEP_2)
	v_lshlrev_b32_e32 v12, 2, v12
	v_lshlrev_b32_e32 v7, 2, v7
	v_cndmask_b32_e32 v13, v6, v13, vcc_lo
	v_cmp_gt_i32_e32 vcc_lo, 32, v14
	ds_bpermute_b32 v10, v7, v9
	v_dual_cndmask_b32 v6, v6, v14 :: v_dual_lshlrev_b32 v13, 2, v13
	s_delay_alu instid0(VALU_DEP_1) | instskip(SKIP_2) | instid1(VALU_DEP_1)
	v_lshlrev_b32_e32 v6, 2, v6
	s_waitcnt lgkmcnt(0)
	v_dual_max_f32 v10, v10, v10 :: v_dual_lshlrev_b32 v11, 2, v11
	v_max_f32_e32 v9, v9, v10
	ds_bpermute_b32 v10, v11, v9
	s_waitcnt lgkmcnt(0)
	v_max_f32_e32 v10, v10, v10
	s_delay_alu instid0(VALU_DEP_1) | instskip(SKIP_3) | instid1(VALU_DEP_1)
	v_max_f32_e32 v9, v9, v10
	ds_bpermute_b32 v10, v12, v9
	s_waitcnt lgkmcnt(0)
	v_max_f32_e32 v10, v10, v10
	v_max_f32_e32 v9, v9, v10
	ds_bpermute_b32 v10, v13, v9
	s_waitcnt lgkmcnt(0)
	v_max_f32_e32 v10, v10, v10
	s_delay_alu instid0(VALU_DEP_1) | instskip(SKIP_3) | instid1(VALU_DEP_1)
	v_max_f32_e32 v9, v9, v10
	ds_bpermute_b32 v10, v6, v9
	s_waitcnt lgkmcnt(0)
	v_max_f32_e32 v10, v10, v10
	v_max_f32_e32 v9, v9, v10
	s_delay_alu instid0(VALU_DEP_1) | instskip(NEXT) | instid1(VALU_DEP_1)
	v_sub_f32_e32 v9, v8, v9
	v_mul_f32_e32 v10, 0x3fb8aa3b, v9
	v_cmp_ngt_f32_e32 vcc_lo, 0xc2ce8ed0, v9
	s_delay_alu instid0(VALU_DEP_2) | instskip(SKIP_1) | instid1(VALU_DEP_2)
	v_fma_f32 v14, 0x3fb8aa3b, v9, -v10
	v_rndne_f32_e32 v15, v10
	v_fmamk_f32 v14, v9, 0x32a5705f, v14
	s_delay_alu instid0(VALU_DEP_2) | instskip(NEXT) | instid1(VALU_DEP_1)
	v_sub_f32_e32 v10, v10, v15
	v_add_f32_e32 v10, v10, v14
	v_cvt_i32_f32_e32 v14, v15
	s_delay_alu instid0(VALU_DEP_2) | instskip(SKIP_2) | instid1(VALU_DEP_1)
	v_exp_f32_e32 v10, v10
	s_waitcnt_depctr 0xfff
	v_ldexp_f32 v10, v10, v14
	v_cndmask_b32_e32 v10, 0, v10, vcc_lo
	v_cmp_nlt_f32_e32 vcc_lo, 0x42b17218, v9
	s_delay_alu instid0(VALU_DEP_2)
	v_cndmask_b32_e32 v9, 0x7f800000, v10, vcc_lo
	ds_bpermute_b32 v7, v7, v9
	s_waitcnt lgkmcnt(0)
	v_add_f32_e32 v7, v9, v7
	ds_bpermute_b32 v10, v11, v7
	s_waitcnt lgkmcnt(0)
	v_add_f32_e32 v7, v7, v10
	;; [unrolled: 3-line block ×5, first 2 shown]
	s_delay_alu instid0(VALU_DEP_1) | instskip(NEXT) | instid1(VALU_DEP_1)
	v_div_scale_f32 v7, null, v6, v6, 1.0
	v_rcp_f32_e32 v10, v7
	s_waitcnt_depctr 0xfff
	v_fma_f32 v11, -v7, v10, 1.0
	s_delay_alu instid0(VALU_DEP_1) | instskip(SKIP_1) | instid1(VALU_DEP_1)
	v_fmac_f32_e32 v10, v11, v10
	v_div_scale_f32 v11, vcc_lo, 1.0, v6, 1.0
	v_mul_f32_e32 v12, v11, v10
	s_delay_alu instid0(VALU_DEP_1) | instskip(NEXT) | instid1(VALU_DEP_1)
	v_fma_f32 v13, -v7, v12, v11
	v_fmac_f32_e32 v12, v13, v10
	s_delay_alu instid0(VALU_DEP_1) | instskip(NEXT) | instid1(VALU_DEP_1)
	v_fma_f32 v7, -v7, v12, v11
	v_div_fmas_f32 v7, v7, v10, v12
	s_delay_alu instid0(VALU_DEP_1) | instskip(NEXT) | instid1(VALU_DEP_1)
	v_div_fixup_f32 v6, v7, v6, 1.0
	v_mul_f32_e32 v6, v9, v6
	s_cbranch_execz .LBB5_5
	s_branch .LBB5_6
.LBB5_4:
                                        ; implicit-def: $vgpr6
.LBB5_5:
	s_waitcnt vmcnt(0)
	v_mul_f32_e32 v6, 0xbfb8aa3b, v8
	v_cmp_nlt_f32_e32 vcc_lo, 0x42ce8ed0, v8
	s_delay_alu instid0(VALU_DEP_2) | instskip(SKIP_1) | instid1(VALU_DEP_1)
	v_rndne_f32_e32 v7, v6
	v_fma_f32 v9, 0xbfb8aa3b, v8, -v6
	v_dual_sub_f32 v6, v6, v7 :: v_dual_fmamk_f32 v9, v8, 0xb2a5705f, v9
	v_cvt_i32_f32_e32 v7, v7
	s_delay_alu instid0(VALU_DEP_2) | instskip(NEXT) | instid1(VALU_DEP_1)
	v_add_f32_e32 v6, v6, v9
	v_exp_f32_e32 v6, v6
	s_waitcnt_depctr 0xfff
	v_ldexp_f32 v6, v6, v7
	s_delay_alu instid0(VALU_DEP_1) | instskip(SKIP_1) | instid1(VALU_DEP_2)
	v_cndmask_b32_e32 v6, 0, v6, vcc_lo
	v_cmp_ngt_f32_e32 vcc_lo, 0xc2b17218, v8
	v_cndmask_b32_e32 v6, 0x7f800000, v6, vcc_lo
	s_delay_alu instid0(VALU_DEP_1) | instskip(NEXT) | instid1(VALU_DEP_1)
	v_add_f32_e32 v6, 1.0, v6
	v_div_scale_f32 v7, null, v6, v6, 1.0
	s_delay_alu instid0(VALU_DEP_1) | instskip(SKIP_2) | instid1(VALU_DEP_1)
	v_rcp_f32_e32 v8, v7
	s_waitcnt_depctr 0xfff
	v_fma_f32 v9, -v7, v8, 1.0
	v_fmac_f32_e32 v8, v9, v8
	v_div_scale_f32 v9, vcc_lo, 1.0, v6, 1.0
	s_delay_alu instid0(VALU_DEP_1) | instskip(NEXT) | instid1(VALU_DEP_1)
	v_mul_f32_e32 v10, v9, v8
	v_fma_f32 v11, -v7, v10, v9
	s_delay_alu instid0(VALU_DEP_1) | instskip(NEXT) | instid1(VALU_DEP_1)
	v_fmac_f32_e32 v10, v11, v8
	v_fma_f32 v7, -v7, v10, v9
	s_delay_alu instid0(VALU_DEP_1) | instskip(NEXT) | instid1(VALU_DEP_1)
	v_div_fmas_f32 v7, v7, v8, v10
	v_div_fixup_f32 v6, v7, v6, 1.0
.LBB5_6:
	s_waitcnt vmcnt(0)
	s_delay_alu instid0(VALU_DEP_1)
	v_mov_b32_e32 v8, v6
.LBB5_7:
	s_waitcnt vmcnt(1)
	v_lshrrev_b16 v5, 8, v5
	s_cmp_gt_i32 s17, 0
	s_delay_alu instid0(VALU_DEP_1)
	v_readfirstlane_b32 s0, v5
	s_cbranch_scc1 .LBB5_9
; %bb.8:
	s_delay_alu instid0(VALU_DEP_1)
	s_bitcmp1_b32 s0, 0
	s_mov_b32 s3, 0
	s_mov_b32 s4, 0
	s_cselect_b32 s2, -1, 0
	s_branch .LBB5_10
.LBB5_9:
	s_mov_b32 s3, -1
                                        ; implicit-def: $sgpr4
                                        ; implicit-def: $sgpr2
.LBB5_10:
	v_dual_mov_b32 v7, s4 :: v_dual_mov_b32 v6, s4
	v_mbcnt_lo_u32_b32 v5, -1, 0
	s_and_not1_b32 vcc_lo, exec_lo, s3
	s_cbranch_vccnz .LBB5_35
; %bb.11:
	global_load_b32 v6, v0, s[10:11]
	s_waitcnt vmcnt(1)
	v_cmp_o_f32_e32 vcc_lo, v8, v8
	v_xor_b32_e32 v9, 16, v5
	v_xor_b32_e32 v10, 8, v5
	v_xor_b32_e32 v11, 4, v5
	v_xor_b32_e32 v12, 2, v5
	v_dual_cndmask_b32 v8, 0xff7fffff, v8 :: v_dual_mov_b32 v7, 0
	v_add_co_u32 v2, vcc_lo, s8, v2
	v_add_co_ci_u32_e32 v3, vcc_lo, s9, v3, vcc_lo
	v_cmp_gt_i32_e32 vcc_lo, 32, v9
	v_xor_b32_e32 v13, 1, v5
	s_bitcmp1_b32 s0, 0
	s_mov_b32 s3, 0
	s_cselect_b32 s2, -1, 0
	v_cndmask_b32_e32 v9, v5, v9, vcc_lo
	v_cmp_gt_i32_e32 vcc_lo, 32, v10
	v_cndmask_b32_e32 v10, v5, v10, vcc_lo
	v_cmp_gt_i32_e32 vcc_lo, 32, v11
	s_delay_alu instid0(VALU_DEP_2)
	v_lshlrev_b32_e32 v10, 2, v10
	v_lshlrev_b32_e32 v9, 2, v9
	v_cndmask_b32_e32 v11, v5, v11, vcc_lo
	v_cmp_gt_i32_e32 vcc_lo, 32, v12
	v_cndmask_b32_e32 v12, v5, v12, vcc_lo
	v_cmp_gt_i32_e32 vcc_lo, 32, v13
	s_delay_alu instid0(VALU_DEP_2) | instskip(SKIP_3) | instid1(VALU_DEP_1)
	v_lshlrev_b32_e32 v12, 2, v12
	v_lshlrev_b32_e32 v11, 2, v11
	s_waitcnt vmcnt(0)
	v_dual_cndmask_b32 v13, v5, v13 :: v_dual_add_f32 v14, v6, v8
	v_dual_mov_b32 v6, 0 :: v_dual_lshlrev_b32 v13, 2, v13
	s_branch .LBB5_13
.LBB5_12:                               ;   in Loop: Header=BB5_13 Depth=1
	s_or_b32 exec_lo, exec_lo, s0
	s_and_b32 s0, s3, 31
	v_cndmask_b32_e64 v14, v14, 0xff800000, vcc_lo
	v_cmp_eq_u32_e32 vcc_lo, s0, v4
	s_add_i32 s3, s3, 1
	s_delay_alu instid0(SALU_CYCLE_1)
	s_cmp_eq_u32 s17, s3
	v_cndmask_b32_e32 v6, v6, v15, vcc_lo
	v_add_co_u32 v2, vcc_lo, v2, 4
	v_add_co_ci_u32_e32 v3, vcc_lo, 0, v3, vcc_lo
	s_cbranch_scc1 .LBB5_35
.LBB5_13:                               ; =>This Inner Loop Header: Depth=1
	ds_bpermute_b32 v20, v9, v14
	ds_bpermute_b32 v21, v9, v8
	;; [unrolled: 1-line block ×3, first 2 shown]
	s_mov_b32 s5, exec_lo
                                        ; implicit-def: $vgpr17
	s_waitcnt lgkmcnt(2)
	v_cmp_lt_f32_e64 s4, v14, v20
	v_cmpx_nlt_f32_e32 v14, v20
	s_cbranch_execz .LBB5_15
; %bb.14:                               ;   in Loop: Header=BB5_13 Depth=1
	v_cmp_eq_f32_e32 vcc_lo, v14, v20
	s_waitcnt lgkmcnt(0)
	v_cmp_lt_i32_e64 s0, v22, v4
	v_mov_b32_e32 v17, v14
	s_and_not1_b32 s4, s4, exec_lo
	s_delay_alu instid0(VALU_DEP_2) | instskip(NEXT) | instid1(SALU_CYCLE_1)
	s_and_b32 s0, vcc_lo, s0
	s_and_b32 s0, s0, exec_lo
	s_delay_alu instid0(SALU_CYCLE_1)
	s_or_b32 s4, s4, s0
.LBB5_15:                               ;   in Loop: Header=BB5_13 Depth=1
	s_or_b32 exec_lo, exec_lo, s5
	v_dual_mov_b32 v18, v8 :: v_dual_mov_b32 v19, v14
	v_mov_b32_e32 v15, v8
	v_mov_b32_e32 v16, v4
	s_and_saveexec_b32 s0, s4
	s_cbranch_execz .LBB5_17
; %bb.16:                               ;   in Loop: Header=BB5_13 Depth=1
	s_waitcnt lgkmcnt(1)
	v_dual_mov_b32 v17, v20 :: v_dual_mov_b32 v18, v21
	s_waitcnt lgkmcnt(0)
	v_dual_mov_b32 v15, v21 :: v_dual_mov_b32 v16, v22
	v_mov_b32_e32 v19, v20
.LBB5_17:                               ;   in Loop: Header=BB5_13 Depth=1
	s_or_b32 exec_lo, exec_lo, s0
	ds_bpermute_b32 v20, v10, v17
	s_waitcnt lgkmcnt(1)
	ds_bpermute_b32 v22, v10, v18
	ds_bpermute_b32 v21, v10, v16
	s_mov_b32 s5, exec_lo
	s_waitcnt lgkmcnt(2)
	v_cmp_lt_f32_e64 s4, v19, v20
	v_cmpx_nlt_f32_e32 v19, v20
	s_cbranch_execz .LBB5_19
; %bb.18:                               ;   in Loop: Header=BB5_13 Depth=1
	v_cmp_eq_f32_e32 vcc_lo, v19, v20
	s_waitcnt lgkmcnt(0)
	v_cmp_lt_i32_e64 s0, v21, v16
	s_and_not1_b32 s4, s4, exec_lo
	s_delay_alu instid0(VALU_DEP_1) | instskip(NEXT) | instid1(SALU_CYCLE_1)
	s_and_b32 s0, vcc_lo, s0
	s_and_b32 s0, s0, exec_lo
	s_delay_alu instid0(SALU_CYCLE_1)
	s_or_b32 s4, s4, s0
.LBB5_19:                               ;   in Loop: Header=BB5_13 Depth=1
	s_or_b32 exec_lo, exec_lo, s5
	s_delay_alu instid0(VALU_DEP_2)
	s_and_saveexec_b32 s0, s4
	s_cbranch_execz .LBB5_21
; %bb.20:                               ;   in Loop: Header=BB5_13 Depth=1
	s_waitcnt lgkmcnt(1)
	v_dual_mov_b32 v17, v20 :: v_dual_mov_b32 v18, v22
	s_waitcnt lgkmcnt(0)
	v_dual_mov_b32 v15, v22 :: v_dual_mov_b32 v16, v21
	v_mov_b32_e32 v19, v20
.LBB5_21:                               ;   in Loop: Header=BB5_13 Depth=1
	s_or_b32 exec_lo, exec_lo, s0
	ds_bpermute_b32 v20, v11, v17
	s_waitcnt lgkmcnt(2)
	ds_bpermute_b32 v22, v11, v18
	s_waitcnt lgkmcnt(2)
	ds_bpermute_b32 v21, v11, v16
	s_mov_b32 s5, exec_lo
	s_waitcnt lgkmcnt(2)
	v_cmp_lt_f32_e64 s4, v19, v20
	v_cmpx_nlt_f32_e32 v19, v20
	s_cbranch_execz .LBB5_23
; %bb.22:                               ;   in Loop: Header=BB5_13 Depth=1
	v_cmp_eq_f32_e32 vcc_lo, v19, v20
	s_waitcnt lgkmcnt(0)
	v_cmp_lt_i32_e64 s0, v21, v16
	s_and_not1_b32 s4, s4, exec_lo
	s_delay_alu instid0(VALU_DEP_1) | instskip(NEXT) | instid1(SALU_CYCLE_1)
	s_and_b32 s0, vcc_lo, s0
	s_and_b32 s0, s0, exec_lo
	s_delay_alu instid0(SALU_CYCLE_1)
	s_or_b32 s4, s4, s0
.LBB5_23:                               ;   in Loop: Header=BB5_13 Depth=1
	s_or_b32 exec_lo, exec_lo, s5
	s_delay_alu instid0(VALU_DEP_2)
	s_and_saveexec_b32 s0, s4
	s_cbranch_execz .LBB5_25
; %bb.24:                               ;   in Loop: Header=BB5_13 Depth=1
	s_waitcnt lgkmcnt(1)
	v_dual_mov_b32 v17, v20 :: v_dual_mov_b32 v18, v22
	s_waitcnt lgkmcnt(0)
	v_dual_mov_b32 v15, v22 :: v_dual_mov_b32 v16, v21
	v_mov_b32_e32 v19, v20
.LBB5_25:                               ;   in Loop: Header=BB5_13 Depth=1
	s_or_b32 exec_lo, exec_lo, s0
	ds_bpermute_b32 v20, v12, v17
	s_waitcnt lgkmcnt(2)
	ds_bpermute_b32 v22, v12, v18
	s_waitcnt lgkmcnt(2)
	ds_bpermute_b32 v21, v12, v16
	s_mov_b32 s5, exec_lo
	s_waitcnt lgkmcnt(2)
	v_cmp_lt_f32_e64 s4, v19, v20
	v_cmpx_nlt_f32_e32 v19, v20
	s_cbranch_execz .LBB5_27
; %bb.26:                               ;   in Loop: Header=BB5_13 Depth=1
	v_cmp_eq_f32_e32 vcc_lo, v19, v20
	s_waitcnt lgkmcnt(0)
	v_cmp_lt_i32_e64 s0, v21, v16
	s_and_not1_b32 s4, s4, exec_lo
	s_delay_alu instid0(VALU_DEP_1) | instskip(NEXT) | instid1(SALU_CYCLE_1)
	s_and_b32 s0, vcc_lo, s0
	s_and_b32 s0, s0, exec_lo
	s_delay_alu instid0(SALU_CYCLE_1)
	s_or_b32 s4, s4, s0
.LBB5_27:                               ;   in Loop: Header=BB5_13 Depth=1
	s_or_b32 exec_lo, exec_lo, s5
	s_delay_alu instid0(VALU_DEP_2)
	s_and_saveexec_b32 s0, s4
	s_cbranch_execz .LBB5_29
; %bb.28:                               ;   in Loop: Header=BB5_13 Depth=1
	s_waitcnt lgkmcnt(1)
	v_dual_mov_b32 v17, v20 :: v_dual_mov_b32 v18, v22
	s_waitcnt lgkmcnt(0)
	v_dual_mov_b32 v15, v22 :: v_dual_mov_b32 v16, v21
	v_mov_b32_e32 v19, v20
.LBB5_29:                               ;   in Loop: Header=BB5_13 Depth=1
	s_or_b32 exec_lo, exec_lo, s0
	ds_bpermute_b32 v20, v13, v17
	ds_bpermute_b32 v18, v13, v18
	;; [unrolled: 1-line block ×3, first 2 shown]
	s_mov_b32 s5, exec_lo
	s_waitcnt lgkmcnt(2)
	v_cmp_lt_f32_e64 s4, v19, v20
	v_cmpx_nlt_f32_e32 v19, v20
	s_cbranch_execz .LBB5_31
; %bb.30:                               ;   in Loop: Header=BB5_13 Depth=1
	v_cmp_eq_f32_e32 vcc_lo, v19, v20
	s_waitcnt lgkmcnt(0)
	v_cmp_lt_i32_e64 s0, v17, v16
	s_and_not1_b32 s4, s4, exec_lo
	s_delay_alu instid0(VALU_DEP_1) | instskip(NEXT) | instid1(SALU_CYCLE_1)
	s_and_b32 s0, vcc_lo, s0
	s_and_b32 s0, s0, exec_lo
	s_delay_alu instid0(SALU_CYCLE_1)
	s_or_b32 s4, s4, s0
.LBB5_31:                               ;   in Loop: Header=BB5_13 Depth=1
	s_or_b32 exec_lo, exec_lo, s5
	s_delay_alu instid0(VALU_DEP_2)
	s_and_saveexec_b32 s0, s4
	s_cbranch_execz .LBB5_33
; %bb.32:                               ;   in Loop: Header=BB5_13 Depth=1
	s_waitcnt lgkmcnt(0)
	v_dual_mov_b32 v15, v18 :: v_dual_mov_b32 v16, v17
.LBB5_33:                               ;   in Loop: Header=BB5_13 Depth=1
	s_or_b32 exec_lo, exec_lo, s0
	s_waitcnt lgkmcnt(0)
	s_delay_alu instid0(VALU_DEP_1) | instskip(NEXT) | instid1(VALU_DEP_1)
	v_and_b32_e32 v17, 31, v16
	v_cmp_eq_u32_e32 vcc_lo, v17, v4
	s_and_saveexec_b32 s0, vcc_lo
	s_cbranch_execz .LBB5_12
; %bb.34:                               ;   in Loop: Header=BB5_13 Depth=1
	v_add_f32_e32 v17, v7, v15
	global_store_b32 v[2:3], v16, off
	v_cndmask_b32_e64 v7, v7, v17, s2
	s_branch .LBB5_12
.LBB5_35:
	s_and_b32 vcc_lo, exec_lo, s2
	s_cbranch_vccnz .LBB5_40
; %bb.36:
	v_cmp_gt_i32_e64 s0, s17, v4
	s_and_not1_b32 vcc_lo, exec_lo, s1
	s_cbranch_vccz .LBB5_41
.LBB5_37:
	v_cmp_gt_i32_e32 vcc_lo, s17, v4
	s_and_b32 exec_lo, exec_lo, vcc_lo
	s_cbranch_execz .LBB5_39
.LBB5_38:
	v_mul_lo_u32 v1, v1, s17
	s_delay_alu instid0(VALU_DEP_1) | instskip(NEXT) | instid1(VALU_DEP_1)
	v_ashrrev_i32_e32 v2, 31, v1
	v_lshlrev_b64 v[1:2], 2, v[1:2]
	s_delay_alu instid0(VALU_DEP_1) | instskip(NEXT) | instid1(VALU_DEP_2)
	v_add_co_u32 v1, vcc_lo, s6, v1
	v_add_co_ci_u32_e32 v2, vcc_lo, s7, v2, vcc_lo
	s_delay_alu instid0(VALU_DEP_2) | instskip(NEXT) | instid1(VALU_DEP_2)
	v_add_co_u32 v0, vcc_lo, v1, v0
	v_add_co_ci_u32_e32 v1, vcc_lo, 0, v2, vcc_lo
	v_mul_f32_e32 v2, s19, v6
	global_store_b32 v[0:1], v2, off
.LBB5_39:
	s_nop 0
	s_sendmsg sendmsg(MSG_DEALLOC_VGPRS)
	s_endpgm
.LBB5_40:
	v_xor_b32_e32 v2, 16, v5
	v_xor_b32_e32 v3, 8, v5
	s_delay_alu instid0(VALU_DEP_2) | instskip(SKIP_1) | instid1(VALU_DEP_3)
	v_cmp_gt_i32_e32 vcc_lo, 32, v2
	v_cndmask_b32_e32 v2, v5, v2, vcc_lo
	v_cmp_gt_i32_e32 vcc_lo, 32, v3
	v_cndmask_b32_e32 v3, v5, v3, vcc_lo
	s_delay_alu instid0(VALU_DEP_1) | instskip(NEXT) | instid1(VALU_DEP_4)
	v_lshlrev_b32_e32 v3, 2, v3
	v_lshlrev_b32_e32 v2, 2, v2
	ds_bpermute_b32 v2, v2, v7
	s_waitcnt lgkmcnt(0)
	v_add_f32_e32 v2, v7, v2
	v_xor_b32_e32 v7, 4, v5
	ds_bpermute_b32 v3, v3, v2
	v_cmp_gt_i32_e32 vcc_lo, 32, v7
	v_cndmask_b32_e32 v7, v5, v7, vcc_lo
	s_delay_alu instid0(VALU_DEP_1) | instskip(SKIP_4) | instid1(VALU_DEP_1)
	v_lshlrev_b32_e32 v7, 2, v7
	s_waitcnt lgkmcnt(0)
	v_add_f32_e32 v2, v2, v3
	ds_bpermute_b32 v3, v7, v2
	v_xor_b32_e32 v7, 2, v5
	v_cmp_gt_i32_e32 vcc_lo, 32, v7
	v_cndmask_b32_e32 v7, v5, v7, vcc_lo
	s_delay_alu instid0(VALU_DEP_1) | instskip(SKIP_4) | instid1(VALU_DEP_1)
	v_lshlrev_b32_e32 v7, 2, v7
	s_waitcnt lgkmcnt(0)
	v_add_f32_e32 v2, v2, v3
	ds_bpermute_b32 v3, v7, v2
	v_xor_b32_e32 v7, 1, v5
	v_cmp_gt_i32_e32 vcc_lo, 32, v7
	v_cndmask_b32_e32 v7, v5, v7, vcc_lo
	s_delay_alu instid0(VALU_DEP_1)
	v_lshlrev_b32_e32 v7, 2, v7
	s_waitcnt lgkmcnt(0)
	v_add_f32_e32 v2, v2, v3
	ds_bpermute_b32 v3, v7, v2
	v_max_f32_e64 v7, s18, s18
	s_waitcnt lgkmcnt(0)
	v_add_f32_e32 v2, v2, v3
	s_delay_alu instid0(VALU_DEP_1) | instskip(NEXT) | instid1(VALU_DEP_1)
	v_max_f32_e32 v2, v2, v7
	v_div_scale_f32 v3, null, v2, v2, 1.0
	s_delay_alu instid0(VALU_DEP_1) | instskip(SKIP_3) | instid1(VALU_DEP_1)
	v_rcp_f32_e32 v7, v3
	s_waitcnt vmcnt(0)
	s_waitcnt_depctr 0xfff
	v_fma_f32 v8, -v3, v7, 1.0
	v_fmac_f32_e32 v7, v8, v7
	v_div_scale_f32 v8, vcc_lo, 1.0, v2, 1.0
	s_delay_alu instid0(VALU_DEP_1) | instskip(NEXT) | instid1(VALU_DEP_1)
	v_mul_f32_e32 v9, v8, v7
	v_fma_f32 v10, -v3, v9, v8
	s_delay_alu instid0(VALU_DEP_1) | instskip(NEXT) | instid1(VALU_DEP_1)
	v_fmac_f32_e32 v9, v10, v7
	v_fma_f32 v3, -v3, v9, v8
	s_delay_alu instid0(VALU_DEP_1) | instskip(NEXT) | instid1(VALU_DEP_1)
	v_div_fmas_f32 v3, v3, v7, v9
	v_div_fixup_f32 v2, v3, v2, 1.0
	s_delay_alu instid0(VALU_DEP_1)
	v_mul_f32_e32 v6, v6, v2
	v_cmp_gt_i32_e64 s0, s17, v4
	s_and_not1_b32 vcc_lo, exec_lo, s1
	s_cbranch_vccnz .LBB5_37
.LBB5_41:
	v_xor_b32_e32 v3, 16, v5
	s_waitcnt vmcnt(0)
	v_xor_b32_e32 v8, 8, v5
	v_xor_b32_e32 v9, 4, v5
	v_xor_b32_e32 v10, 2, v5
	v_xor_b32_e32 v11, 1, v5
	v_cmp_gt_i32_e32 vcc_lo, 32, v3
	v_dual_max_f32 v2, v6, v6 :: v_dual_cndmask_b32 v3, v5, v3
	s_delay_alu instid0(VALU_DEP_1) | instskip(SKIP_1) | instid1(VALU_DEP_3)
	v_max_f32_e32 v2, 0xff800000, v2
	v_cmp_gt_i32_e32 vcc_lo, 32, v8
	v_lshlrev_b32_e32 v3, 2, v3
	s_delay_alu instid0(VALU_DEP_3)
	v_cndmask_b32_e64 v2, 0xff800000, v2, s0
	ds_bpermute_b32 v7, v3, v2
	v_cndmask_b32_e32 v8, v5, v8, vcc_lo
	v_cmp_gt_i32_e32 vcc_lo, 32, v9
	v_cndmask_b32_e32 v9, v5, v9, vcc_lo
	v_cmp_gt_i32_e32 vcc_lo, 32, v10
	s_delay_alu instid0(VALU_DEP_2) | instskip(SKIP_1) | instid1(VALU_DEP_2)
	v_dual_cndmask_b32 v10, v5, v10 :: v_dual_lshlrev_b32 v9, 2, v9
	v_cmp_gt_i32_e32 vcc_lo, 32, v11
	v_dual_cndmask_b32 v5, v5, v11 :: v_dual_lshlrev_b32 v10, 2, v10
	s_waitcnt lgkmcnt(0)
	v_dual_max_f32 v7, v7, v7 :: v_dual_lshlrev_b32 v8, 2, v8
	s_delay_alu instid0(VALU_DEP_1) | instskip(SKIP_3) | instid1(VALU_DEP_1)
	v_dual_max_f32 v2, v2, v7 :: v_dual_lshlrev_b32 v5, 2, v5
	ds_bpermute_b32 v7, v8, v2
	s_waitcnt lgkmcnt(0)
	v_max_f32_e32 v7, v7, v7
	v_max_f32_e32 v2, v2, v7
	ds_bpermute_b32 v7, v9, v2
	s_waitcnt lgkmcnt(0)
	v_max_f32_e32 v7, v7, v7
	s_delay_alu instid0(VALU_DEP_1) | instskip(SKIP_3) | instid1(VALU_DEP_1)
	v_max_f32_e32 v2, v2, v7
	ds_bpermute_b32 v7, v10, v2
	s_waitcnt lgkmcnt(0)
	v_max_f32_e32 v7, v7, v7
	v_max_f32_e32 v2, v2, v7
	ds_bpermute_b32 v7, v5, v2
	s_waitcnt lgkmcnt(0)
	v_max_f32_e32 v7, v7, v7
	s_delay_alu instid0(VALU_DEP_1) | instskip(NEXT) | instid1(VALU_DEP_1)
	v_max_f32_e32 v2, v2, v7
	v_sub_f32_e32 v2, v6, v2
	s_delay_alu instid0(VALU_DEP_1) | instskip(SKIP_1) | instid1(VALU_DEP_2)
	v_mul_f32_e32 v6, 0x3fb8aa3b, v2
	v_cmp_ngt_f32_e32 vcc_lo, 0xc2ce8ed0, v2
	v_fma_f32 v7, 0x3fb8aa3b, v2, -v6
	v_rndne_f32_e32 v11, v6
	s_delay_alu instid0(VALU_DEP_2) | instskip(NEXT) | instid1(VALU_DEP_2)
	v_fmamk_f32 v7, v2, 0x32a5705f, v7
	v_sub_f32_e32 v6, v6, v11
	s_delay_alu instid0(VALU_DEP_1) | instskip(SKIP_1) | instid1(VALU_DEP_2)
	v_add_f32_e32 v6, v6, v7
	v_cvt_i32_f32_e32 v7, v11
	v_exp_f32_e32 v6, v6
	s_waitcnt_depctr 0xfff
	v_ldexp_f32 v6, v6, v7
	s_delay_alu instid0(VALU_DEP_1) | instskip(SKIP_1) | instid1(VALU_DEP_2)
	v_cndmask_b32_e32 v6, 0, v6, vcc_lo
	v_cmp_nlt_f32_e32 vcc_lo, 0x42b17218, v2
	v_cndmask_b32_e32 v2, 0x7f800000, v6, vcc_lo
	s_delay_alu instid0(VALU_DEP_1)
	v_cndmask_b32_e64 v6, 0, v2, s0
	ds_bpermute_b32 v3, v3, v6
	s_waitcnt lgkmcnt(0)
	v_add_f32_e32 v3, v6, v3
	ds_bpermute_b32 v6, v8, v3
	s_waitcnt lgkmcnt(0)
	v_add_f32_e32 v3, v3, v6
	;; [unrolled: 3-line block ×3, first 2 shown]
	ds_bpermute_b32 v6, v10, v3
	s_waitcnt lgkmcnt(0)
	v_dual_add_f32 v3, v3, v6 :: v_dual_mov_b32 v6, 0
	ds_bpermute_b32 v5, v5, v3
	s_and_saveexec_b32 s1, s0
	s_cbranch_execz .LBB5_43
; %bb.42:
	s_waitcnt lgkmcnt(0)
	v_add_f32_e32 v3, v3, v5
	s_delay_alu instid0(VALU_DEP_1) | instskip(NEXT) | instid1(VALU_DEP_1)
	v_div_scale_f32 v5, null, v3, v3, 1.0
	v_rcp_f32_e32 v6, v5
	s_waitcnt_depctr 0xfff
	v_fma_f32 v7, -v5, v6, 1.0
	s_delay_alu instid0(VALU_DEP_1) | instskip(SKIP_1) | instid1(VALU_DEP_1)
	v_fmac_f32_e32 v6, v7, v6
	v_div_scale_f32 v7, vcc_lo, 1.0, v3, 1.0
	v_mul_f32_e32 v8, v7, v6
	s_delay_alu instid0(VALU_DEP_1) | instskip(NEXT) | instid1(VALU_DEP_1)
	v_fma_f32 v9, -v5, v8, v7
	v_fmac_f32_e32 v8, v9, v6
	s_delay_alu instid0(VALU_DEP_1) | instskip(NEXT) | instid1(VALU_DEP_1)
	v_fma_f32 v5, -v5, v8, v7
	v_div_fmas_f32 v5, v5, v6, v8
	s_delay_alu instid0(VALU_DEP_1) | instskip(NEXT) | instid1(VALU_DEP_1)
	v_div_fixup_f32 v3, v5, v3, 1.0
	v_mul_f32_e32 v6, v2, v3
.LBB5_43:
	s_or_b32 exec_lo, exec_lo, s1
	v_cmp_gt_i32_e32 vcc_lo, s17, v4
	s_and_b32 exec_lo, exec_lo, vcc_lo
	s_cbranch_execnz .LBB5_38
	s_branch .LBB5_39
	.section	.rodata,"a",@progbits
	.p2align	6, 0x0
	.amdhsa_kernel _Z13topk_moe_cudaILi32ELb1EEvPKfPfPiS2_iiff15topk_moe_config
		.amdhsa_group_segment_fixed_size 0
		.amdhsa_private_segment_fixed_size 0
		.amdhsa_kernarg_size 312
		.amdhsa_user_sgpr_count 15
		.amdhsa_user_sgpr_dispatch_ptr 0
		.amdhsa_user_sgpr_queue_ptr 0
		.amdhsa_user_sgpr_kernarg_segment_ptr 1
		.amdhsa_user_sgpr_dispatch_id 0
		.amdhsa_user_sgpr_private_segment_size 0
		.amdhsa_wavefront_size32 1
		.amdhsa_uses_dynamic_stack 0
		.amdhsa_enable_private_segment 0
		.amdhsa_system_sgpr_workgroup_id_x 1
		.amdhsa_system_sgpr_workgroup_id_y 0
		.amdhsa_system_sgpr_workgroup_id_z 0
		.amdhsa_system_sgpr_workgroup_info 0
		.amdhsa_system_vgpr_workitem_id 1
		.amdhsa_next_free_vgpr 23
		.amdhsa_next_free_sgpr 20
		.amdhsa_reserve_vcc 1
		.amdhsa_float_round_mode_32 0
		.amdhsa_float_round_mode_16_64 0
		.amdhsa_float_denorm_mode_32 3
		.amdhsa_float_denorm_mode_16_64 3
		.amdhsa_dx10_clamp 1
		.amdhsa_ieee_mode 1
		.amdhsa_fp16_overflow 0
		.amdhsa_workgroup_processor_mode 1
		.amdhsa_memory_ordered 1
		.amdhsa_forward_progress 0
		.amdhsa_shared_vgpr_count 0
		.amdhsa_exception_fp_ieee_invalid_op 0
		.amdhsa_exception_fp_denorm_src 0
		.amdhsa_exception_fp_ieee_div_zero 0
		.amdhsa_exception_fp_ieee_overflow 0
		.amdhsa_exception_fp_ieee_underflow 0
		.amdhsa_exception_fp_ieee_inexact 0
		.amdhsa_exception_int_div_zero 0
	.end_amdhsa_kernel
	.section	.text._Z13topk_moe_cudaILi32ELb1EEvPKfPfPiS2_iiff15topk_moe_config,"axG",@progbits,_Z13topk_moe_cudaILi32ELb1EEvPKfPfPiS2_iiff15topk_moe_config,comdat
.Lfunc_end5:
	.size	_Z13topk_moe_cudaILi32ELb1EEvPKfPfPiS2_iiff15topk_moe_config, .Lfunc_end5-_Z13topk_moe_cudaILi32ELb1EEvPKfPfPiS2_iiff15topk_moe_config
                                        ; -- End function
	.section	.AMDGPU.csdata,"",@progbits
; Kernel info:
; codeLenInByte = 2996
; NumSgprs: 22
; NumVgprs: 23
; ScratchSize: 0
; MemoryBound: 0
; FloatMode: 240
; IeeeMode: 1
; LDSByteSize: 0 bytes/workgroup (compile time only)
; SGPRBlocks: 2
; VGPRBlocks: 2
; NumSGPRsForWavesPerEU: 22
; NumVGPRsForWavesPerEU: 23
; Occupancy: 16
; WaveLimiterHint : 0
; COMPUTE_PGM_RSRC2:SCRATCH_EN: 0
; COMPUTE_PGM_RSRC2:USER_SGPR: 15
; COMPUTE_PGM_RSRC2:TRAP_HANDLER: 0
; COMPUTE_PGM_RSRC2:TGID_X_EN: 1
; COMPUTE_PGM_RSRC2:TGID_Y_EN: 0
; COMPUTE_PGM_RSRC2:TGID_Z_EN: 0
; COMPUTE_PGM_RSRC2:TIDIG_COMP_CNT: 1
	.section	.text._Z13topk_moe_cudaILi64ELb1EEvPKfPfPiS2_iiff15topk_moe_config,"axG",@progbits,_Z13topk_moe_cudaILi64ELb1EEvPKfPfPiS2_iiff15topk_moe_config,comdat
	.protected	_Z13topk_moe_cudaILi64ELb1EEvPKfPfPiS2_iiff15topk_moe_config ; -- Begin function _Z13topk_moe_cudaILi64ELb1EEvPKfPfPiS2_iiff15topk_moe_config
	.globl	_Z13topk_moe_cudaILi64ELb1EEvPKfPfPiS2_iiff15topk_moe_config
	.p2align	8
	.type	_Z13topk_moe_cudaILi64ELb1EEvPKfPfPiS2_iiff15topk_moe_config,@function
_Z13topk_moe_cudaILi64ELb1EEvPKfPfPiS2_iiff15topk_moe_config: ; @_Z13topk_moe_cudaILi64ELb1EEvPKfPfPiS2_iiff15topk_moe_config
; %bb.0:
	s_clause 0x1
	s_load_b32 s2, s[0:1], 0x44
	s_load_b128 s[16:19], s[0:1], 0x20
	v_bfe_u32 v3, v0, 10, 10
	s_waitcnt lgkmcnt(0)
	s_lshr_b32 s2, s2, 16
	s_delay_alu instid0(VALU_DEP_1) | instid1(SALU_CYCLE_1)
	v_mad_u64_u32 v[1:2], null, s15, s2, v[3:4]
	s_mov_b32 s2, exec_lo
	s_delay_alu instid0(VALU_DEP_1)
	v_cmpx_gt_i32_e64 s16, v1
	s_cbranch_execz .LBB6_46
; %bb.1:
	s_load_b256 s[4:11], s[0:1], 0x0
	v_dual_mov_b32 v7, 0 :: v_dual_lshlrev_b32 v2, 6, v1
	v_and_b32_e32 v8, 0x3ff, v0
	s_delay_alu instid0(VALU_DEP_2) | instskip(NEXT) | instid1(VALU_DEP_2)
	v_ashrrev_i32_e32 v3, 31, v2
	v_lshlrev_b32_e32 v0, 2, v8
	s_delay_alu instid0(VALU_DEP_2) | instskip(SKIP_1) | instid1(VALU_DEP_1)
	v_lshlrev_b64 v[2:3], 2, v[2:3]
	s_waitcnt lgkmcnt(0)
	v_add_co_u32 v4, vcc_lo, s4, v2
	s_delay_alu instid0(VALU_DEP_2) | instskip(NEXT) | instid1(VALU_DEP_2)
	v_add_co_ci_u32_e32 v6, vcc_lo, s5, v3, vcc_lo
	v_add_co_u32 v5, vcc_lo, v4, v0
	s_delay_alu instid0(VALU_DEP_2)
	v_add_co_ci_u32_e32 v6, vcc_lo, 0, v6, vcc_lo
	global_load_u16 v9, v7, s[0:1] offset:48
	s_clause 0x1
	global_load_b32 v4, v[5:6], off
	global_load_b32 v5, v[5:6], off offset:128
	s_load_b32 s0, s[0:1], 0x30
	s_waitcnt lgkmcnt(0)
	s_bitcmp1_b32 s0, 16
	s_cselect_b32 s2, -1, 0
	s_delay_alu instid0(SALU_CYCLE_1)
	s_and_b32 vcc_lo, exec_lo, s2
	s_cbranch_vccnz .LBB6_4
; %bb.2:
	s_waitcnt vmcnt(2)
	v_and_b32_e32 v6, 1, v9
	s_delay_alu instid0(VALU_DEP_1)
	v_cmp_eq_u32_e32 vcc_lo, 0, v6
	s_cbranch_vccz .LBB6_5
; %bb.3:
	v_mbcnt_lo_u32_b32 v6, -1, 0
	s_waitcnt vmcnt(0)
	v_max3_f32 v10, v4, 0xff800000, v5
	s_delay_alu instid0(VALU_DEP_2)
	v_xor_b32_e32 v7, 16, v6
	v_xor_b32_e32 v12, 8, v6
	;; [unrolled: 1-line block ×5, first 2 shown]
	v_cmp_gt_i32_e32 vcc_lo, 32, v7
	v_cndmask_b32_e32 v7, v6, v7, vcc_lo
	v_cmp_gt_i32_e32 vcc_lo, 32, v12
	v_cndmask_b32_e32 v12, v6, v12, vcc_lo
	v_cmp_gt_i32_e32 vcc_lo, 32, v13
	s_delay_alu instid0(VALU_DEP_2)
	v_dual_cndmask_b32 v13, v6, v13 :: v_dual_lshlrev_b32 v12, 2, v12
	v_cmp_gt_i32_e32 vcc_lo, 32, v14
	v_dual_cndmask_b32 v14, v6, v14 :: v_dual_lshlrev_b32 v7, 2, v7
	ds_bpermute_b32 v11, v7, v10
	v_cmp_gt_i32_e32 vcc_lo, 32, v15
	v_lshlrev_b32_e32 v14, 2, v14
	v_dual_cndmask_b32 v6, v6, v15 :: v_dual_lshlrev_b32 v13, 2, v13
	s_waitcnt lgkmcnt(0)
	s_delay_alu instid0(VALU_DEP_1) | instskip(NEXT) | instid1(VALU_DEP_1)
	v_dual_max_f32 v11, v11, v11 :: v_dual_lshlrev_b32 v6, 2, v6
	v_max_f32_e32 v10, v10, v11
	ds_bpermute_b32 v11, v12, v10
	s_waitcnt lgkmcnt(0)
	v_max_f32_e32 v11, v11, v11
	s_delay_alu instid0(VALU_DEP_1) | instskip(SKIP_3) | instid1(VALU_DEP_1)
	v_max_f32_e32 v10, v10, v11
	ds_bpermute_b32 v11, v13, v10
	s_waitcnt lgkmcnt(0)
	v_max_f32_e32 v11, v11, v11
	v_max_f32_e32 v10, v10, v11
	ds_bpermute_b32 v11, v14, v10
	s_waitcnt lgkmcnt(0)
	v_max_f32_e32 v11, v11, v11
	s_delay_alu instid0(VALU_DEP_1) | instskip(SKIP_3) | instid1(VALU_DEP_1)
	v_max_f32_e32 v10, v10, v11
	ds_bpermute_b32 v11, v6, v10
	s_waitcnt lgkmcnt(0)
	v_max_f32_e32 v11, v11, v11
	v_max_f32_e32 v10, v10, v11
	s_delay_alu instid0(VALU_DEP_1) | instskip(NEXT) | instid1(VALU_DEP_1)
	v_sub_f32_e32 v11, v4, v10
	v_dual_sub_f32 v10, v5, v10 :: v_dual_mul_f32 v15, 0x3fb8aa3b, v11
	s_delay_alu instid0(VALU_DEP_1) | instskip(SKIP_1) | instid1(VALU_DEP_3)
	v_mul_f32_e32 v16, 0x3fb8aa3b, v10
	v_cmp_ngt_f32_e32 vcc_lo, 0xc2ce8ed0, v11
	v_fma_f32 v17, 0x3fb8aa3b, v11, -v15
	v_rndne_f32_e32 v18, v15
	s_delay_alu instid0(VALU_DEP_4) | instskip(SKIP_1) | instid1(VALU_DEP_4)
	v_fma_f32 v19, 0x3fb8aa3b, v10, -v16
	v_rndne_f32_e32 v20, v16
	v_fmac_f32_e32 v17, 0x32a5705f, v11
	s_delay_alu instid0(VALU_DEP_4) | instskip(NEXT) | instid1(VALU_DEP_3)
	v_sub_f32_e32 v15, v15, v18
	v_dual_fmac_f32 v19, 0x32a5705f, v10 :: v_dual_sub_f32 v16, v16, v20
	s_delay_alu instid0(VALU_DEP_2) | instskip(SKIP_1) | instid1(VALU_DEP_3)
	v_add_f32_e32 v15, v15, v17
	v_cvt_i32_f32_e32 v17, v18
	v_add_f32_e32 v16, v16, v19
	v_cvt_i32_f32_e32 v18, v20
	s_delay_alu instid0(VALU_DEP_4) | instskip(NEXT) | instid1(VALU_DEP_2)
	v_exp_f32_e32 v15, v15
	v_exp_f32_e32 v16, v16
	s_waitcnt_depctr 0xfff
	v_ldexp_f32 v15, v15, v17
	v_ldexp_f32 v16, v16, v18
	s_delay_alu instid0(VALU_DEP_2) | instskip(SKIP_1) | instid1(VALU_DEP_3)
	v_cndmask_b32_e32 v15, 0, v15, vcc_lo
	v_cmp_ngt_f32_e32 vcc_lo, 0xc2ce8ed0, v10
	v_cndmask_b32_e32 v16, 0, v16, vcc_lo
	v_cmp_nlt_f32_e32 vcc_lo, 0x42b17218, v11
	s_delay_alu instid0(VALU_DEP_4) | instskip(SKIP_1) | instid1(VALU_DEP_4)
	v_cndmask_b32_e32 v11, 0x7f800000, v15, vcc_lo
	v_cmp_nlt_f32_e32 vcc_lo, 0x42b17218, v10
	v_cndmask_b32_e32 v10, 0x7f800000, v16, vcc_lo
	s_delay_alu instid0(VALU_DEP_1)
	v_add_f32_e32 v15, v11, v10
	ds_bpermute_b32 v7, v7, v15
	s_waitcnt lgkmcnt(0)
	v_add_f32_e32 v7, v15, v7
	ds_bpermute_b32 v12, v12, v7
	s_waitcnt lgkmcnt(0)
	;; [unrolled: 3-line block ×5, first 2 shown]
	v_add_f32_e32 v6, v7, v6
	s_delay_alu instid0(VALU_DEP_1) | instskip(SKIP_1) | instid1(VALU_DEP_2)
	v_div_scale_f32 v7, null, v6, v6, 1.0
	v_div_scale_f32 v14, vcc_lo, 1.0, v6, 1.0
	v_rcp_f32_e32 v12, v7
	s_waitcnt_depctr 0xfff
	v_fma_f32 v13, -v7, v12, 1.0
	s_delay_alu instid0(VALU_DEP_1) | instskip(NEXT) | instid1(VALU_DEP_1)
	v_fmac_f32_e32 v12, v13, v12
	v_mul_f32_e32 v13, v14, v12
	s_delay_alu instid0(VALU_DEP_1) | instskip(NEXT) | instid1(VALU_DEP_1)
	v_fma_f32 v15, -v7, v13, v14
	v_fmac_f32_e32 v13, v15, v12
	s_delay_alu instid0(VALU_DEP_1) | instskip(NEXT) | instid1(VALU_DEP_1)
	v_fma_f32 v7, -v7, v13, v14
	v_div_fmas_f32 v7, v7, v12, v13
	s_delay_alu instid0(VALU_DEP_1) | instskip(NEXT) | instid1(VALU_DEP_1)
	v_div_fixup_f32 v7, v7, v6, 1.0
	v_mul_f32_e32 v6, v11, v7
	v_mul_f32_e32 v7, v10, v7
	s_cbranch_execz .LBB6_6
	s_branch .LBB6_7
.LBB6_4:
	s_waitcnt vmcnt(1)
	v_mov_b32_e32 v6, v4
	s_branch .LBB6_8
.LBB6_5:
                                        ; implicit-def: $vgpr6
.LBB6_6:
	s_waitcnt vmcnt(0)
	v_dual_mul_f32 v6, 0xbfb8aa3b, v4 :: v_dual_mul_f32 v7, 0xbfb8aa3b, v5
	v_cmp_nlt_f32_e32 vcc_lo, 0x42ce8ed0, v4
	s_delay_alu instid0(VALU_DEP_2) | instskip(SKIP_1) | instid1(VALU_DEP_4)
	v_rndne_f32_e32 v10, v6
	v_fma_f32 v11, 0xbfb8aa3b, v4, -v6
	v_rndne_f32_e32 v12, v7
	v_fma_f32 v13, 0xbfb8aa3b, v5, -v7
	s_delay_alu instid0(VALU_DEP_3) | instskip(NEXT) | instid1(VALU_DEP_3)
	v_dual_sub_f32 v6, v6, v10 :: v_dual_fmac_f32 v11, 0xb2a5705f, v4
	v_sub_f32_e32 v7, v7, v12
	v_cvt_i32_f32_e32 v10, v10
	s_delay_alu instid0(VALU_DEP_3) | instskip(SKIP_1) | instid1(VALU_DEP_2)
	v_add_f32_e32 v6, v6, v11
	v_cvt_i32_f32_e32 v11, v12
	v_exp_f32_e32 v6, v6
	s_waitcnt_depctr 0xfff
	v_ldexp_f32 v6, v6, v10
	s_delay_alu instid0(VALU_DEP_1) | instskip(NEXT) | instid1(VALU_DEP_1)
	v_dual_fmac_f32 v13, 0xb2a5705f, v5 :: v_dual_cndmask_b32 v6, 0, v6
	v_add_f32_e32 v7, v7, v13
	v_cmp_nlt_f32_e32 vcc_lo, 0x42ce8ed0, v5
	s_delay_alu instid0(VALU_DEP_2) | instskip(SKIP_2) | instid1(VALU_DEP_1)
	v_exp_f32_e32 v7, v7
	s_waitcnt_depctr 0xfff
	v_ldexp_f32 v7, v7, v11
	v_cndmask_b32_e32 v7, 0, v7, vcc_lo
	v_cmp_ngt_f32_e32 vcc_lo, 0xc2b17218, v4
	v_cndmask_b32_e32 v4, 0x7f800000, v6, vcc_lo
	v_cmp_ngt_f32_e32 vcc_lo, 0xc2b17218, v5
	s_delay_alu instid0(VALU_DEP_2) | instskip(NEXT) | instid1(VALU_DEP_1)
	v_add_f32_e32 v4, 1.0, v4
	v_div_scale_f32 v6, null, v4, v4, 1.0
	s_delay_alu instid0(VALU_DEP_1) | instskip(SKIP_4) | instid1(VALU_DEP_2)
	v_rcp_f32_e32 v10, v6
	s_waitcnt_depctr 0xfff
	v_fma_f32 v12, -v6, v10, 1.0
	v_cndmask_b32_e32 v5, 0x7f800000, v7, vcc_lo
	v_div_scale_f32 v14, vcc_lo, 1.0, v4, 1.0
	v_dual_fmac_f32 v10, v12, v10 :: v_dual_add_f32 v5, 1.0, v5
	s_delay_alu instid0(VALU_DEP_1) | instskip(SKIP_1) | instid1(VALU_DEP_2)
	v_div_scale_f32 v7, null, v5, v5, 1.0
	v_div_scale_f32 v12, s0, 1.0, v5, 1.0
	v_rcp_f32_e32 v11, v7
	s_waitcnt_depctr 0xfff
	v_fma_f32 v13, -v7, v11, 1.0
	s_delay_alu instid0(VALU_DEP_1) | instskip(SKIP_1) | instid1(VALU_DEP_2)
	v_fmac_f32_e32 v11, v13, v11
	v_mul_f32_e32 v13, v14, v10
	v_mul_f32_e32 v15, v12, v11
	s_delay_alu instid0(VALU_DEP_2) | instskip(NEXT) | instid1(VALU_DEP_2)
	v_fma_f32 v16, -v6, v13, v14
	v_fma_f32 v17, -v7, v15, v12
	s_delay_alu instid0(VALU_DEP_2) | instskip(NEXT) | instid1(VALU_DEP_2)
	v_fmac_f32_e32 v13, v16, v10
	v_fmac_f32_e32 v15, v17, v11
	s_delay_alu instid0(VALU_DEP_2) | instskip(NEXT) | instid1(VALU_DEP_2)
	v_fma_f32 v6, -v6, v13, v14
	v_fma_f32 v7, -v7, v15, v12
	s_delay_alu instid0(VALU_DEP_2) | instskip(SKIP_1) | instid1(VALU_DEP_2)
	v_div_fmas_f32 v6, v6, v10, v13
	s_mov_b32 vcc_lo, s0
	v_div_fmas_f32 v7, v7, v11, v15
	s_delay_alu instid0(VALU_DEP_2) | instskip(NEXT) | instid1(VALU_DEP_2)
	v_div_fixup_f32 v6, v6, v4, 1.0
	v_div_fixup_f32 v7, v7, v5, 1.0
.LBB6_7:
	s_waitcnt vmcnt(0)
	s_delay_alu instid0(VALU_DEP_1)
	v_dual_mov_b32 v4, v6 :: v_dual_mov_b32 v5, v7
.LBB6_8:
	v_lshrrev_b16 v7, 8, v9
	s_cmp_gt_i32 s17, 0
	s_delay_alu instid0(VALU_DEP_1)
	v_readfirstlane_b32 s3, v7
	s_cbranch_scc1 .LBB6_10
; %bb.9:
	s_delay_alu instid0(VALU_DEP_1)
	s_bitcmp1_b32 s3, 0
	s_mov_b32 s0, 0
	s_mov_b32 s4, 0
	s_cselect_b32 s1, -1, 0
	s_branch .LBB6_11
.LBB6_10:
	s_mov_b32 s0, -1
                                        ; implicit-def: $sgpr4
                                        ; implicit-def: $sgpr1
.LBB6_11:
	v_dual_mov_b32 v10, s4 :: v_dual_add_nc_u32 v7, 32, v8
	v_mbcnt_lo_u32_b32 v9, -1, 0
	v_dual_mov_b32 v11, s4 :: v_dual_mov_b32 v12, s4
	s_and_not1_b32 vcc_lo, exec_lo, s0
	s_cbranch_vccnz .LBB6_38
; %bb.12:
	s_clause 0x1
	global_load_b32 v10, v0, s[10:11]
	global_load_b32 v18, v0, s[10:11] offset:128
	v_cmp_u_f32_e32 vcc_lo, v6, v6
	v_xor_b32_e32 v6, 16, v9
	v_xor_b32_e32 v13, 8, v9
	;; [unrolled: 1-line block ×4, first 2 shown]
	v_cndmask_b32_e64 v4, v4, 0xff7fffff, vcc_lo
	s_waitcnt vmcnt(2)
	v_cndmask_b32_e32 v5, v5, v5, vcc_lo
	v_cmp_gt_i32_e32 vcc_lo, 32, v6
	v_xor_b32_e32 v16, 1, v9
	v_add_co_u32 v2, s0, s8, v2
	s_delay_alu instid0(VALU_DEP_1)
	v_add_co_ci_u32_e64 v3, s0, s9, v3, s0
	v_cndmask_b32_e32 v6, v9, v6, vcc_lo
	v_cmp_gt_i32_e32 vcc_lo, 32, v13
	v_dual_mov_b32 v12, 0 :: v_dual_mov_b32 v11, 0
	s_bitcmp1_b32 s3, 0
	s_mov_b32 s3, 0
	v_cndmask_b32_e32 v13, v9, v13, vcc_lo
	v_cmp_gt_i32_e32 vcc_lo, 32, v14
	s_cselect_b32 s1, -1, 0
	v_cndmask_b32_e32 v14, v9, v14, vcc_lo
	v_cmp_gt_i32_e32 vcc_lo, 32, v15
	v_cndmask_b32_e32 v15, v9, v15, vcc_lo
	v_cmp_gt_i32_e32 vcc_lo, 32, v16
	s_waitcnt vmcnt(1)
	v_dual_cndmask_b32 v16, v9, v16 :: v_dual_add_f32 v17, v4, v10
	s_delay_alu instid0(VALU_DEP_1)
	v_lshlrev_b32_e32 v16, 2, v16
	v_lshlrev_b32_e32 v15, 2, v15
	;; [unrolled: 1-line block ×5, first 2 shown]
	v_cmp_u_f32_e32 vcc_lo, v5, v5
	v_mov_b32_e32 v10, 0
	v_cndmask_b32_e64 v5, v5, 0xff7fffff, vcc_lo
	s_waitcnt vmcnt(0)
	s_delay_alu instid0(VALU_DEP_1)
	v_add_f32_e32 v18, v5, v18
	s_branch .LBB6_14
.LBB6_13:                               ;   in Loop: Header=BB6_14 Depth=1
	s_or_b32 exec_lo, exec_lo, s0
	s_lshr_b32 s0, s3, 5
	s_and_b32 s4, s3, 31
	s_cmp_eq_u32 s0, 1
	s_cselect_b32 vcc_lo, -1, 0
	s_cmp_eq_u32 s0, 0
	v_cndmask_b32_e32 v20, v10, v19, vcc_lo
	s_cselect_b32 vcc_lo, -1, 0
	s_add_i32 s3, s3, 1
	v_cndmask_b32_e32 v19, v11, v19, vcc_lo
	v_cmp_eq_u32_e32 vcc_lo, s4, v8
	s_cmp_eq_u32 s17, s3
	s_delay_alu instid0(VALU_DEP_2)
	v_dual_cndmask_b32 v10, v10, v20 :: v_dual_cndmask_b32 v11, v11, v19
	v_add_co_u32 v2, vcc_lo, v2, 4
	v_add_co_ci_u32_e32 v3, vcc_lo, 0, v3, vcc_lo
	s_cbranch_scc1 .LBB6_38
.LBB6_14:                               ; =>This Inner Loop Header: Depth=1
	s_delay_alu instid0(VALU_DEP_1)
	v_cmp_gt_f32_e32 vcc_lo, v18, v17
	s_mov_b32 s5, exec_lo
	v_dual_cndmask_b32 v21, v17, v18 :: v_dual_cndmask_b32 v20, v8, v7
	v_cndmask_b32_e32 v19, v4, v5, vcc_lo
	s_waitcnt lgkmcnt(0)
	ds_bpermute_b32 v22, v6, v21
	ds_bpermute_b32 v23, v6, v20
	;; [unrolled: 1-line block ×3, first 2 shown]
	s_waitcnt lgkmcnt(2)
	v_cmp_lt_f32_e64 s4, v21, v22
	v_cmpx_nlt_f32_e32 v21, v22
	s_cbranch_execz .LBB6_16
; %bb.15:                               ;   in Loop: Header=BB6_14 Depth=1
	v_cmp_eq_f32_e32 vcc_lo, v21, v22
	s_waitcnt lgkmcnt(1)
	v_cmp_lt_i32_e64 s0, v23, v20
	s_and_not1_b32 s4, s4, exec_lo
	s_delay_alu instid0(VALU_DEP_1) | instskip(NEXT) | instid1(SALU_CYCLE_1)
	s_and_b32 s0, vcc_lo, s0
	s_and_b32 s0, s0, exec_lo
	s_delay_alu instid0(SALU_CYCLE_1)
	s_or_b32 s4, s4, s0
.LBB6_16:                               ;   in Loop: Header=BB6_14 Depth=1
	s_or_b32 exec_lo, exec_lo, s5
	s_delay_alu instid0(VALU_DEP_2)
	s_and_saveexec_b32 s0, s4
	s_cbranch_execz .LBB6_18
; %bb.17:                               ;   in Loop: Header=BB6_14 Depth=1
	s_waitcnt lgkmcnt(1)
	v_dual_mov_b32 v21, v22 :: v_dual_mov_b32 v20, v23
	s_waitcnt lgkmcnt(0)
	v_mov_b32_e32 v19, v24
.LBB6_18:                               ;   in Loop: Header=BB6_14 Depth=1
	s_or_b32 exec_lo, exec_lo, s0
	s_waitcnt lgkmcnt(0)
	ds_bpermute_b32 v24, v13, v21
	ds_bpermute_b32 v23, v13, v19
	;; [unrolled: 1-line block ×3, first 2 shown]
	s_mov_b32 s5, exec_lo
	s_waitcnt lgkmcnt(2)
	v_cmp_lt_f32_e64 s4, v21, v24
	v_cmpx_nlt_f32_e32 v21, v24
	s_cbranch_execz .LBB6_20
; %bb.19:                               ;   in Loop: Header=BB6_14 Depth=1
	v_cmp_eq_f32_e32 vcc_lo, v21, v24
	s_waitcnt lgkmcnt(0)
	v_cmp_lt_i32_e64 s0, v22, v20
	s_and_not1_b32 s4, s4, exec_lo
	s_delay_alu instid0(VALU_DEP_1) | instskip(NEXT) | instid1(SALU_CYCLE_1)
	s_and_b32 s0, vcc_lo, s0
	s_and_b32 s0, s0, exec_lo
	s_delay_alu instid0(SALU_CYCLE_1)
	s_or_b32 s4, s4, s0
.LBB6_20:                               ;   in Loop: Header=BB6_14 Depth=1
	s_or_b32 exec_lo, exec_lo, s5
	s_delay_alu instid0(VALU_DEP_2)
	s_and_saveexec_b32 s0, s4
	s_cbranch_execz .LBB6_22
; %bb.21:                               ;   in Loop: Header=BB6_14 Depth=1
	s_waitcnt lgkmcnt(0)
	v_dual_mov_b32 v21, v24 :: v_dual_mov_b32 v20, v22
	v_mov_b32_e32 v19, v23
.LBB6_22:                               ;   in Loop: Header=BB6_14 Depth=1
	s_or_b32 exec_lo, exec_lo, s0
	ds_bpermute_b32 v24, v14, v21
	s_waitcnt lgkmcnt(2)
	ds_bpermute_b32 v23, v14, v19
	s_waitcnt lgkmcnt(2)
	ds_bpermute_b32 v22, v14, v20
	s_mov_b32 s5, exec_lo
	s_waitcnt lgkmcnt(2)
	v_cmp_lt_f32_e64 s4, v21, v24
	v_cmpx_nlt_f32_e32 v21, v24
	s_cbranch_execz .LBB6_24
; %bb.23:                               ;   in Loop: Header=BB6_14 Depth=1
	v_cmp_eq_f32_e32 vcc_lo, v21, v24
	s_waitcnt lgkmcnt(0)
	v_cmp_lt_i32_e64 s0, v22, v20
	s_and_not1_b32 s4, s4, exec_lo
	s_delay_alu instid0(VALU_DEP_1) | instskip(NEXT) | instid1(SALU_CYCLE_1)
	s_and_b32 s0, vcc_lo, s0
	s_and_b32 s0, s0, exec_lo
	s_delay_alu instid0(SALU_CYCLE_1)
	s_or_b32 s4, s4, s0
.LBB6_24:                               ;   in Loop: Header=BB6_14 Depth=1
	s_or_b32 exec_lo, exec_lo, s5
	s_delay_alu instid0(VALU_DEP_2)
	s_and_saveexec_b32 s0, s4
	s_cbranch_execz .LBB6_26
; %bb.25:                               ;   in Loop: Header=BB6_14 Depth=1
	s_waitcnt lgkmcnt(0)
	v_dual_mov_b32 v21, v24 :: v_dual_mov_b32 v20, v22
	v_mov_b32_e32 v19, v23
.LBB6_26:                               ;   in Loop: Header=BB6_14 Depth=1
	s_or_b32 exec_lo, exec_lo, s0
	ds_bpermute_b32 v24, v15, v21
	s_waitcnt lgkmcnt(2)
	ds_bpermute_b32 v23, v15, v19
	s_waitcnt lgkmcnt(2)
	ds_bpermute_b32 v22, v15, v20
	;; [unrolled: 31-line block ×3, first 2 shown]
	s_mov_b32 s5, exec_lo
	s_waitcnt lgkmcnt(2)
	v_cmp_lt_f32_e64 s4, v21, v24
	v_cmpx_nlt_f32_e32 v21, v24
	s_cbranch_execz .LBB6_32
; %bb.31:                               ;   in Loop: Header=BB6_14 Depth=1
	v_cmp_eq_f32_e32 vcc_lo, v21, v24
	s_waitcnt lgkmcnt(0)
	v_cmp_lt_i32_e64 s0, v22, v20
	s_and_not1_b32 s4, s4, exec_lo
	s_delay_alu instid0(VALU_DEP_1) | instskip(NEXT) | instid1(SALU_CYCLE_1)
	s_and_b32 s0, vcc_lo, s0
	s_and_b32 s0, s0, exec_lo
	s_delay_alu instid0(SALU_CYCLE_1)
	s_or_b32 s4, s4, s0
.LBB6_32:                               ;   in Loop: Header=BB6_14 Depth=1
	s_or_b32 exec_lo, exec_lo, s5
	s_delay_alu instid0(VALU_DEP_2)
	s_and_saveexec_b32 s0, s4
	s_cbranch_execz .LBB6_34
; %bb.33:                               ;   in Loop: Header=BB6_14 Depth=1
	s_waitcnt lgkmcnt(0)
	v_dual_mov_b32 v19, v23 :: v_dual_mov_b32 v20, v22
.LBB6_34:                               ;   in Loop: Header=BB6_14 Depth=1
	s_or_b32 exec_lo, exec_lo, s0
	s_delay_alu instid0(VALU_DEP_1) | instskip(NEXT) | instid1(VALU_DEP_1)
	v_and_b32_e32 v21, 31, v20
	v_cmp_eq_u32_e32 vcc_lo, v21, v8
	s_and_saveexec_b32 s4, vcc_lo
; %bb.35:                               ;   in Loop: Header=BB6_14 Depth=1
	v_ashrrev_i32_e32 v21, 31, v20
	s_delay_alu instid0(VALU_DEP_1) | instskip(NEXT) | instid1(VALU_DEP_1)
	v_lshrrev_b32_e32 v21, 27, v21
	v_add_nc_u32_e32 v21, v20, v21
	s_delay_alu instid0(VALU_DEP_1) | instskip(NEXT) | instid1(VALU_DEP_1)
	v_ashrrev_i32_e32 v21, 5, v21
	v_cmp_ne_u32_e64 s0, 1, v21
	s_delay_alu instid0(VALU_DEP_1) | instskip(SKIP_1) | instid1(VALU_DEP_1)
	v_cndmask_b32_e64 v18, 0xff800000, v18, s0
	v_cmp_ne_u32_e64 s0, 0, v21
	v_cndmask_b32_e64 v17, 0xff800000, v17, s0
; %bb.36:                               ;   in Loop: Header=BB6_14 Depth=1
	s_or_b32 exec_lo, exec_lo, s4
	s_and_saveexec_b32 s0, vcc_lo
	s_cbranch_execz .LBB6_13
; %bb.37:                               ;   in Loop: Header=BB6_14 Depth=1
	v_add_f32_e32 v21, v12, v19
	global_store_b32 v[2:3], v20, off
	v_cndmask_b32_e64 v12, v12, v21, s1
	s_branch .LBB6_13
.LBB6_38:
	s_and_b32 vcc_lo, exec_lo, s1
	s_cbranch_vccz .LBB6_40
; %bb.39:
	v_xor_b32_e32 v2, 16, v9
	v_xor_b32_e32 v3, 8, v9
	;; [unrolled: 1-line block ×3, first 2 shown]
	s_delay_alu instid0(VALU_DEP_3) | instskip(SKIP_1) | instid1(VALU_DEP_4)
	v_cmp_gt_i32_e32 vcc_lo, 32, v2
	v_cndmask_b32_e32 v2, v9, v2, vcc_lo
	v_cmp_gt_i32_e32 vcc_lo, 32, v3
	v_cndmask_b32_e32 v3, v9, v3, vcc_lo
	v_cmp_gt_i32_e32 vcc_lo, 32, v4
	s_delay_alu instid0(VALU_DEP_2)
	v_lshlrev_b32_e32 v3, 2, v3
	v_lshlrev_b32_e32 v2, 2, v2
	v_cndmask_b32_e32 v4, v9, v4, vcc_lo
	ds_bpermute_b32 v2, v2, v12
	v_lshlrev_b32_e32 v4, 2, v4
	s_waitcnt lgkmcnt(0)
	v_add_f32_e32 v2, v12, v2
	ds_bpermute_b32 v3, v3, v2
	s_waitcnt lgkmcnt(0)
	v_add_f32_e32 v2, v2, v3
	ds_bpermute_b32 v3, v4, v2
	v_xor_b32_e32 v4, 2, v9
	s_delay_alu instid0(VALU_DEP_1) | instskip(SKIP_1) | instid1(VALU_DEP_1)
	v_cmp_gt_i32_e32 vcc_lo, 32, v4
	v_cndmask_b32_e32 v4, v9, v4, vcc_lo
	v_lshlrev_b32_e32 v4, 2, v4
	s_waitcnt lgkmcnt(0)
	v_add_f32_e32 v2, v2, v3
	ds_bpermute_b32 v3, v4, v2
	v_xor_b32_e32 v4, 1, v9
	s_delay_alu instid0(VALU_DEP_1) | instskip(SKIP_1) | instid1(VALU_DEP_1)
	v_cmp_gt_i32_e32 vcc_lo, 32, v4
	v_cndmask_b32_e32 v4, v9, v4, vcc_lo
	v_lshlrev_b32_e32 v4, 2, v4
	s_waitcnt lgkmcnt(0)
	v_add_f32_e32 v2, v2, v3
	ds_bpermute_b32 v3, v4, v2
	v_max_f32_e64 v4, s18, s18
	s_waitcnt lgkmcnt(0)
	v_add_f32_e32 v2, v2, v3
	s_delay_alu instid0(VALU_DEP_1) | instskip(NEXT) | instid1(VALU_DEP_1)
	v_max_f32_e32 v2, v2, v4
	v_div_scale_f32 v3, null, v2, v2, 1.0
	v_div_scale_f32 v6, vcc_lo, 1.0, v2, 1.0
	s_delay_alu instid0(VALU_DEP_2) | instskip(SKIP_3) | instid1(VALU_DEP_1)
	v_rcp_f32_e32 v4, v3
	s_waitcnt vmcnt(0)
	s_waitcnt_depctr 0xfff
	v_fma_f32 v5, -v3, v4, 1.0
	v_fmac_f32_e32 v4, v5, v4
	s_delay_alu instid0(VALU_DEP_1) | instskip(NEXT) | instid1(VALU_DEP_1)
	v_mul_f32_e32 v5, v6, v4
	v_fma_f32 v12, -v3, v5, v6
	s_delay_alu instid0(VALU_DEP_1) | instskip(NEXT) | instid1(VALU_DEP_1)
	v_fmac_f32_e32 v5, v12, v4
	v_fma_f32 v3, -v3, v5, v6
	s_delay_alu instid0(VALU_DEP_1) | instskip(NEXT) | instid1(VALU_DEP_1)
	v_div_fmas_f32 v3, v3, v4, v5
	v_div_fixup_f32 v2, v3, v2, 1.0
	s_delay_alu instid0(VALU_DEP_1)
	v_mul_f32_e32 v11, v2, v11
	v_mul_f32_e32 v10, v2, v10
.LBB6_40:
	v_cmp_gt_i32_e64 s0, s17, v7
	v_cmp_gt_i32_e64 s1, s17, v8
	s_and_not1_b32 vcc_lo, exec_lo, s2
	s_cbranch_vccnz .LBB6_42
; %bb.41:
	v_xor_b32_e32 v3, 16, v9
	s_waitcnt vmcnt(0)
	v_xor_b32_e32 v5, 8, v9
	v_xor_b32_e32 v6, 4, v9
	;; [unrolled: 1-line block ×4, first 2 shown]
	v_cmp_gt_i32_e32 vcc_lo, 32, v3
	v_dual_max_f32 v4, v10, v10 :: v_dual_cndmask_b32 v3, v9, v3
	v_cmp_gt_i32_e32 vcc_lo, 32, v5
	v_max_f32_e32 v2, v11, v11
	s_delay_alu instid0(VALU_DEP_3) | instskip(NEXT) | instid1(VALU_DEP_2)
	v_lshlrev_b32_e32 v3, 2, v3
	v_dual_cndmask_b32 v5, v9, v5 :: v_dual_max_f32 v2, 0xff800000, v2
	v_cmp_gt_i32_e32 vcc_lo, 32, v6
	s_delay_alu instid0(VALU_DEP_2) | instskip(NEXT) | instid1(VALU_DEP_3)
	v_lshlrev_b32_e32 v5, 2, v5
	v_cndmask_b32_e64 v2, 0xff800000, v2, s1
	v_cndmask_b32_e32 v6, v9, v6, vcc_lo
	v_cmp_gt_i32_e32 vcc_lo, 32, v12
	s_delay_alu instid0(VALU_DEP_3) | instskip(NEXT) | instid1(VALU_DEP_3)
	v_max_f32_e32 v4, v2, v4
	v_lshlrev_b32_e32 v6, 2, v6
	v_cndmask_b32_e32 v12, v9, v12, vcc_lo
	v_cmp_gt_i32_e32 vcc_lo, 32, v13
	s_delay_alu instid0(VALU_DEP_4) | instskip(NEXT) | instid1(VALU_DEP_3)
	v_cndmask_b32_e64 v2, v2, v4, s0
	v_dual_cndmask_b32 v9, v9, v13 :: v_dual_lshlrev_b32 v12, 2, v12
	ds_bpermute_b32 v4, v3, v2
	s_waitcnt lgkmcnt(0)
	v_dual_max_f32 v4, v4, v4 :: v_dual_lshlrev_b32 v9, 2, v9
	s_delay_alu instid0(VALU_DEP_1) | instskip(SKIP_3) | instid1(VALU_DEP_1)
	v_max_f32_e32 v2, v2, v4
	ds_bpermute_b32 v4, v5, v2
	s_waitcnt lgkmcnt(0)
	v_max_f32_e32 v4, v4, v4
	v_max_f32_e32 v2, v2, v4
	ds_bpermute_b32 v4, v6, v2
	s_waitcnt lgkmcnt(0)
	v_max_f32_e32 v4, v4, v4
	s_delay_alu instid0(VALU_DEP_1) | instskip(SKIP_3) | instid1(VALU_DEP_1)
	v_max_f32_e32 v2, v2, v4
	ds_bpermute_b32 v4, v12, v2
	s_waitcnt lgkmcnt(0)
	v_max_f32_e32 v4, v4, v4
	v_max_f32_e32 v2, v2, v4
	ds_bpermute_b32 v4, v9, v2
	s_waitcnt lgkmcnt(0)
	v_max_f32_e32 v4, v4, v4
	s_delay_alu instid0(VALU_DEP_1) | instskip(NEXT) | instid1(VALU_DEP_1)
	v_max_f32_e32 v2, v2, v4
	v_sub_f32_e32 v4, v11, v2
	v_sub_f32_e32 v2, v10, v2
	s_delay_alu instid0(VALU_DEP_1) | instskip(SKIP_1) | instid1(VALU_DEP_2)
	v_dual_mul_f32 v10, 0x3fb8aa3b, v4 :: v_dual_mul_f32 v11, 0x3fb8aa3b, v2
	v_cmp_ngt_f32_e32 vcc_lo, 0xc2ce8ed0, v4
	v_fma_f32 v13, 0x3fb8aa3b, v4, -v10
	v_rndne_f32_e32 v14, v10
	s_delay_alu instid0(VALU_DEP_4) | instskip(SKIP_1) | instid1(VALU_DEP_3)
	v_fma_f32 v15, 0x3fb8aa3b, v2, -v11
	v_rndne_f32_e32 v16, v11
	v_dual_fmac_f32 v13, 0x32a5705f, v4 :: v_dual_sub_f32 v10, v10, v14
	s_delay_alu instid0(VALU_DEP_3) | instskip(NEXT) | instid1(VALU_DEP_2)
	v_fmac_f32_e32 v15, 0x32a5705f, v2
	v_dual_sub_f32 v11, v11, v16 :: v_dual_add_f32 v10, v10, v13
	v_cvt_i32_f32_e32 v13, v14
	s_delay_alu instid0(VALU_DEP_2) | instskip(SKIP_1) | instid1(VALU_DEP_4)
	v_add_f32_e32 v11, v11, v15
	v_cvt_i32_f32_e32 v14, v16
	v_exp_f32_e32 v10, v10
	s_delay_alu instid0(VALU_DEP_2) | instskip(SKIP_3) | instid1(VALU_DEP_2)
	v_exp_f32_e32 v11, v11
	s_waitcnt_depctr 0xfff
	v_ldexp_f32 v10, v10, v13
	v_ldexp_f32 v11, v11, v14
	v_cndmask_b32_e32 v10, 0, v10, vcc_lo
	v_cmp_ngt_f32_e32 vcc_lo, 0xc2ce8ed0, v2
	s_delay_alu instid0(VALU_DEP_3) | instskip(SKIP_1) | instid1(VALU_DEP_4)
	v_cndmask_b32_e32 v11, 0, v11, vcc_lo
	v_cmp_nlt_f32_e32 vcc_lo, 0x42b17218, v4
	v_cndmask_b32_e32 v4, 0x7f800000, v10, vcc_lo
	v_cmp_nlt_f32_e32 vcc_lo, 0x42b17218, v2
	s_delay_alu instid0(VALU_DEP_2) | instskip(SKIP_1) | instid1(VALU_DEP_1)
	v_cndmask_b32_e64 v4, 0, v4, s1
	v_cndmask_b32_e32 v2, 0x7f800000, v11, vcc_lo
	v_add_f32_e32 v10, v2, v4
	s_delay_alu instid0(VALU_DEP_1)
	v_cndmask_b32_e64 v10, v4, v10, s0
	ds_bpermute_b32 v3, v3, v10
	s_waitcnt lgkmcnt(0)
	v_add_f32_e32 v3, v10, v3
	ds_bpermute_b32 v5, v5, v3
	s_waitcnt lgkmcnt(0)
	v_add_f32_e32 v3, v3, v5
	;; [unrolled: 3-line block ×5, first 2 shown]
	s_delay_alu instid0(VALU_DEP_1) | instskip(SKIP_1) | instid1(VALU_DEP_2)
	v_div_scale_f32 v5, null, v3, v3, 1.0
	v_div_scale_f32 v10, vcc_lo, 1.0, v3, 1.0
	v_rcp_f32_e32 v6, v5
	s_waitcnt_depctr 0xfff
	v_fma_f32 v9, -v5, v6, 1.0
	s_delay_alu instid0(VALU_DEP_1) | instskip(NEXT) | instid1(VALU_DEP_1)
	v_fmac_f32_e32 v6, v9, v6
	v_mul_f32_e32 v9, v10, v6
	v_cndmask_b32_e64 v2, 0, v2, s0
	s_delay_alu instid0(VALU_DEP_2) | instskip(NEXT) | instid1(VALU_DEP_1)
	v_fma_f32 v11, -v5, v9, v10
	v_fmac_f32_e32 v9, v11, v6
	s_delay_alu instid0(VALU_DEP_1) | instskip(NEXT) | instid1(VALU_DEP_1)
	v_fma_f32 v5, -v5, v9, v10
	v_div_fmas_f32 v5, v5, v6, v9
	s_delay_alu instid0(VALU_DEP_1) | instskip(NEXT) | instid1(VALU_DEP_1)
	v_div_fixup_f32 v3, v5, v3, 1.0
	v_mul_f32_e32 v5, v4, v3
	v_mul_f32_e32 v3, v2, v3
	s_delay_alu instid0(VALU_DEP_2) | instskip(NEXT) | instid1(VALU_DEP_2)
	v_cndmask_b32_e64 v11, v4, v5, s1
	v_cndmask_b32_e64 v10, v2, v3, s0
.LBB6_42:
	v_mul_lo_u32 v1, v1, s17
	s_mov_b32 s0, exec_lo
	s_delay_alu instid0(VALU_DEP_1) | instskip(NEXT) | instid1(VALU_DEP_1)
	v_ashrrev_i32_e32 v2, 31, v1
	v_lshlrev_b64 v[1:2], 2, v[1:2]
	s_delay_alu instid0(VALU_DEP_1) | instskip(NEXT) | instid1(VALU_DEP_2)
	v_add_co_u32 v1, vcc_lo, s6, v1
	v_add_co_ci_u32_e32 v2, vcc_lo, s7, v2, vcc_lo
	v_cmpx_gt_i32_e64 s17, v8
	s_cbranch_execz .LBB6_44
; %bb.43:
	s_delay_alu instid0(VALU_DEP_3) | instskip(NEXT) | instid1(VALU_DEP_3)
	v_add_co_u32 v3, vcc_lo, v1, v0
	v_add_co_ci_u32_e32 v4, vcc_lo, 0, v2, vcc_lo
	s_waitcnt vmcnt(0)
	v_mul_f32_e32 v5, s19, v11
	global_store_b32 v[3:4], v5, off
.LBB6_44:
	s_or_b32 exec_lo, exec_lo, s0
	v_cmp_gt_i32_e32 vcc_lo, s17, v7
	s_and_b32 exec_lo, exec_lo, vcc_lo
	s_cbranch_execz .LBB6_46
; %bb.45:
	v_add_co_u32 v0, vcc_lo, v1, v0
	v_add_co_ci_u32_e32 v1, vcc_lo, 0, v2, vcc_lo
	v_mul_f32_e32 v2, s19, v10
	global_store_b32 v[0:1], v2, off offset:128
.LBB6_46:
	s_nop 0
	s_sendmsg sendmsg(MSG_DEALLOC_VGPRS)
	s_endpgm
	.section	.rodata,"a",@progbits
	.p2align	6, 0x0
	.amdhsa_kernel _Z13topk_moe_cudaILi64ELb1EEvPKfPfPiS2_iiff15topk_moe_config
		.amdhsa_group_segment_fixed_size 0
		.amdhsa_private_segment_fixed_size 0
		.amdhsa_kernarg_size 312
		.amdhsa_user_sgpr_count 15
		.amdhsa_user_sgpr_dispatch_ptr 0
		.amdhsa_user_sgpr_queue_ptr 0
		.amdhsa_user_sgpr_kernarg_segment_ptr 1
		.amdhsa_user_sgpr_dispatch_id 0
		.amdhsa_user_sgpr_private_segment_size 0
		.amdhsa_wavefront_size32 1
		.amdhsa_uses_dynamic_stack 0
		.amdhsa_enable_private_segment 0
		.amdhsa_system_sgpr_workgroup_id_x 1
		.amdhsa_system_sgpr_workgroup_id_y 0
		.amdhsa_system_sgpr_workgroup_id_z 0
		.amdhsa_system_sgpr_workgroup_info 0
		.amdhsa_system_vgpr_workitem_id 1
		.amdhsa_next_free_vgpr 25
		.amdhsa_next_free_sgpr 20
		.amdhsa_reserve_vcc 1
		.amdhsa_float_round_mode_32 0
		.amdhsa_float_round_mode_16_64 0
		.amdhsa_float_denorm_mode_32 3
		.amdhsa_float_denorm_mode_16_64 3
		.amdhsa_dx10_clamp 1
		.amdhsa_ieee_mode 1
		.amdhsa_fp16_overflow 0
		.amdhsa_workgroup_processor_mode 1
		.amdhsa_memory_ordered 1
		.amdhsa_forward_progress 0
		.amdhsa_shared_vgpr_count 0
		.amdhsa_exception_fp_ieee_invalid_op 0
		.amdhsa_exception_fp_denorm_src 0
		.amdhsa_exception_fp_ieee_div_zero 0
		.amdhsa_exception_fp_ieee_overflow 0
		.amdhsa_exception_fp_ieee_underflow 0
		.amdhsa_exception_fp_ieee_inexact 0
		.amdhsa_exception_int_div_zero 0
	.end_amdhsa_kernel
	.section	.text._Z13topk_moe_cudaILi64ELb1EEvPKfPfPiS2_iiff15topk_moe_config,"axG",@progbits,_Z13topk_moe_cudaILi64ELb1EEvPKfPfPiS2_iiff15topk_moe_config,comdat
.Lfunc_end6:
	.size	_Z13topk_moe_cudaILi64ELb1EEvPKfPfPiS2_iiff15topk_moe_config, .Lfunc_end6-_Z13topk_moe_cudaILi64ELb1EEvPKfPfPiS2_iiff15topk_moe_config
                                        ; -- End function
	.section	.AMDGPU.csdata,"",@progbits
; Kernel info:
; codeLenInByte = 3620
; NumSgprs: 22
; NumVgprs: 25
; ScratchSize: 0
; MemoryBound: 0
; FloatMode: 240
; IeeeMode: 1
; LDSByteSize: 0 bytes/workgroup (compile time only)
; SGPRBlocks: 2
; VGPRBlocks: 3
; NumSGPRsForWavesPerEU: 22
; NumVGPRsForWavesPerEU: 25
; Occupancy: 16
; WaveLimiterHint : 1
; COMPUTE_PGM_RSRC2:SCRATCH_EN: 0
; COMPUTE_PGM_RSRC2:USER_SGPR: 15
; COMPUTE_PGM_RSRC2:TRAP_HANDLER: 0
; COMPUTE_PGM_RSRC2:TGID_X_EN: 1
; COMPUTE_PGM_RSRC2:TGID_Y_EN: 0
; COMPUTE_PGM_RSRC2:TGID_Z_EN: 0
; COMPUTE_PGM_RSRC2:TIDIG_COMP_CNT: 1
	.section	.text._Z13topk_moe_cudaILi128ELb1EEvPKfPfPiS2_iiff15topk_moe_config,"axG",@progbits,_Z13topk_moe_cudaILi128ELb1EEvPKfPfPiS2_iiff15topk_moe_config,comdat
	.protected	_Z13topk_moe_cudaILi128ELb1EEvPKfPfPiS2_iiff15topk_moe_config ; -- Begin function _Z13topk_moe_cudaILi128ELb1EEvPKfPfPiS2_iiff15topk_moe_config
	.globl	_Z13topk_moe_cudaILi128ELb1EEvPKfPfPiS2_iiff15topk_moe_config
	.p2align	8
	.type	_Z13topk_moe_cudaILi128ELb1EEvPKfPfPiS2_iiff15topk_moe_config,@function
_Z13topk_moe_cudaILi128ELb1EEvPKfPfPiS2_iiff15topk_moe_config: ; @_Z13topk_moe_cudaILi128ELb1EEvPKfPfPiS2_iiff15topk_moe_config
; %bb.0:
	s_clause 0x1
	s_load_b32 s2, s[0:1], 0x44
	s_load_b128 s[16:19], s[0:1], 0x20
	v_bfe_u32 v1, v0, 10, 10
	s_waitcnt lgkmcnt(0)
	s_lshr_b32 s2, s2, 16
	s_delay_alu instid0(VALU_DEP_1) | instid1(SALU_CYCLE_1)
	v_mad_u64_u32 v[8:9], null, s15, s2, v[1:2]
	s_mov_b32 s2, exec_lo
	s_delay_alu instid0(VALU_DEP_1)
	v_cmpx_gt_i32_e64 s16, v8
	s_cbranch_execz .LBB7_47
; %bb.1:
	s_load_b256 s[4:11], s[0:1], 0x0
	v_lshlrev_b32_e32 v1, 7, v8
	v_and_b32_e32 v12, 0x3ff, v0
	s_delay_alu instid0(VALU_DEP_2) | instskip(NEXT) | instid1(VALU_DEP_2)
	v_ashrrev_i32_e32 v2, 31, v1
	v_lshlrev_b32_e32 v11, 2, v12
	s_delay_alu instid0(VALU_DEP_2) | instskip(SKIP_2) | instid1(VALU_DEP_2)
	v_lshlrev_b64 v[9:10], 2, v[1:2]
	v_mov_b32_e32 v2, 0
	s_waitcnt lgkmcnt(0)
	v_add_co_u32 v0, vcc_lo, s4, v9
	s_delay_alu instid0(VALU_DEP_3) | instskip(NEXT) | instid1(VALU_DEP_2)
	v_add_co_ci_u32_e32 v1, vcc_lo, s5, v10, vcc_lo
	v_add_co_u32 v3, vcc_lo, v0, v11
	s_delay_alu instid0(VALU_DEP_2)
	v_add_co_ci_u32_e32 v4, vcc_lo, 0, v1, vcc_lo
	global_load_u16 v13, v2, s[0:1] offset:48
	s_clause 0x3
	global_load_b32 v0, v[3:4], off
	global_load_b32 v1, v[3:4], off offset:128
	global_load_b32 v2, v[3:4], off offset:256
	;; [unrolled: 1-line block ×3, first 2 shown]
	s_load_b32 s0, s[0:1], 0x30
	s_waitcnt lgkmcnt(0)
	s_bitcmp1_b32 s0, 16
	s_cselect_b32 s4, -1, 0
	s_delay_alu instid0(SALU_CYCLE_1)
	s_and_b32 vcc_lo, exec_lo, s4
	s_cbranch_vccnz .LBB7_4
; %bb.2:
	s_waitcnt vmcnt(4)
	v_and_b32_e32 v4, 1, v13
	s_delay_alu instid0(VALU_DEP_1)
	v_cmp_eq_u32_e32 vcc_lo, 0, v4
	s_cbranch_vccz .LBB7_5
; %bb.3:
	v_mbcnt_lo_u32_b32 v4, -1, 0
	s_waitcnt vmcnt(2)
	v_max3_f32 v6, v0, 0xff800000, v1
	s_delay_alu instid0(VALU_DEP_2) | instskip(SKIP_2) | instid1(VALU_DEP_3)
	v_xor_b32_e32 v5, 16, v4
	v_xor_b32_e32 v14, 8, v4
	s_waitcnt vmcnt(0)
	v_max3_f32 v6, v6, v2, v3
	v_xor_b32_e32 v15, 4, v4
	v_xor_b32_e32 v16, 2, v4
	v_cmp_gt_i32_e32 vcc_lo, 32, v5
	v_xor_b32_e32 v17, 1, v4
	v_cndmask_b32_e32 v5, v4, v5, vcc_lo
	v_cmp_gt_i32_e32 vcc_lo, 32, v14
	v_cndmask_b32_e32 v14, v4, v14, vcc_lo
	v_cmp_gt_i32_e32 vcc_lo, 32, v15
	s_delay_alu instid0(VALU_DEP_2)
	v_lshlrev_b32_e32 v14, 2, v14
	v_lshlrev_b32_e32 v5, 2, v5
	v_cndmask_b32_e32 v15, v4, v15, vcc_lo
	v_cmp_gt_i32_e32 vcc_lo, 32, v16
	ds_bpermute_b32 v7, v5, v6
	v_cndmask_b32_e32 v16, v4, v16, vcc_lo
	v_cmp_gt_i32_e32 vcc_lo, 32, v17
	s_delay_alu instid0(VALU_DEP_2) | instskip(SKIP_2) | instid1(VALU_DEP_1)
	v_lshlrev_b32_e32 v16, 2, v16
	v_dual_cndmask_b32 v4, v4, v17 :: v_dual_lshlrev_b32 v15, 2, v15
	s_waitcnt lgkmcnt(0)
	v_dual_max_f32 v7, v7, v7 :: v_dual_lshlrev_b32 v4, 2, v4
	s_delay_alu instid0(VALU_DEP_1) | instskip(SKIP_3) | instid1(VALU_DEP_1)
	v_max_f32_e32 v6, v6, v7
	ds_bpermute_b32 v7, v14, v6
	s_waitcnt lgkmcnt(0)
	v_max_f32_e32 v7, v7, v7
	v_max_f32_e32 v6, v6, v7
	ds_bpermute_b32 v7, v15, v6
	s_waitcnt lgkmcnt(0)
	v_max_f32_e32 v7, v7, v7
	s_delay_alu instid0(VALU_DEP_1) | instskip(SKIP_3) | instid1(VALU_DEP_1)
	v_max_f32_e32 v6, v6, v7
	ds_bpermute_b32 v7, v16, v6
	s_waitcnt lgkmcnt(0)
	v_max_f32_e32 v7, v7, v7
	v_max_f32_e32 v6, v6, v7
	ds_bpermute_b32 v7, v4, v6
	s_waitcnt lgkmcnt(0)
	v_max_f32_e32 v7, v7, v7
	s_delay_alu instid0(VALU_DEP_1) | instskip(NEXT) | instid1(VALU_DEP_1)
	v_max_f32_e32 v6, v6, v7
	v_sub_f32_e32 v18, v2, v6
	s_delay_alu instid0(VALU_DEP_1) | instskip(NEXT) | instid1(VALU_DEP_1)
	v_mul_f32_e32 v21, 0x3fb8aa3b, v18
	v_fma_f32 v27, 0x3fb8aa3b, v18, -v21
	v_rndne_f32_e32 v28, v21
	s_delay_alu instid0(VALU_DEP_2) | instskip(SKIP_2) | instid1(VALU_DEP_4)
	v_fmac_f32_e32 v27, 0x32a5705f, v18
	v_sub_f32_e32 v7, v0, v6
	v_sub_f32_e32 v17, v1, v6
	v_dual_sub_f32 v6, v3, v6 :: v_dual_sub_f32 v21, v21, v28
	s_delay_alu instid0(VALU_DEP_2) | instskip(NEXT) | instid1(VALU_DEP_2)
	v_mul_f32_e32 v20, 0x3fb8aa3b, v17
	v_dual_mul_f32 v22, 0x3fb8aa3b, v6 :: v_dual_add_f32 v21, v21, v27
	s_delay_alu instid0(VALU_DEP_2) | instskip(NEXT) | instid1(VALU_DEP_2)
	v_fma_f32 v25, 0x3fb8aa3b, v17, -v20
	v_fma_f32 v29, 0x3fb8aa3b, v6, -v22
	v_rndne_f32_e32 v30, v22
	v_rndne_f32_e32 v26, v20
	v_exp_f32_e32 v21, v21
	v_fmac_f32_e32 v25, 0x32a5705f, v17
	v_fmac_f32_e32 v29, 0x32a5705f, v6
	v_sub_f32_e32 v22, v22, v30
	v_sub_f32_e32 v20, v20, v26
	s_delay_alu instid0(VALU_DEP_2) | instskip(SKIP_1) | instid1(VALU_DEP_3)
	v_dual_add_f32 v22, v22, v29 :: v_dual_mul_f32 v19, 0x3fb8aa3b, v7
	v_cmp_ngt_f32_e32 vcc_lo, 0xc2ce8ed0, v7
	v_add_f32_e32 v20, v20, v25
	v_cvt_i32_f32_e32 v25, v28
	s_delay_alu instid0(VALU_DEP_4) | instskip(SKIP_4) | instid1(VALU_DEP_3)
	v_exp_f32_e32 v22, v22
	v_fma_f32 v23, 0x3fb8aa3b, v7, -v19
	v_rndne_f32_e32 v24, v19
	v_exp_f32_e32 v20, v20
	v_ldexp_f32 v21, v21, v25
	v_fmac_f32_e32 v23, 0x32a5705f, v7
	s_delay_alu instid0(VALU_DEP_3) | instskip(NEXT) | instid1(VALU_DEP_1)
	v_sub_f32_e32 v19, v19, v24
	v_add_f32_e32 v19, v19, v23
	v_cvt_i32_f32_e32 v23, v24
	v_cvt_i32_f32_e32 v24, v26
	;; [unrolled: 1-line block ×3, first 2 shown]
	s_delay_alu instid0(VALU_DEP_4)
	v_exp_f32_e32 v19, v19
	s_delay_alu instid0(TRANS32_DEP_2) | instid1(VALU_DEP_2)
	v_ldexp_f32 v20, v20, v24
	s_delay_alu instid0(VALU_DEP_2) | instskip(SKIP_2) | instid1(VALU_DEP_1)
	v_ldexp_f32 v22, v22, v26
	s_waitcnt_depctr 0xfff
	v_ldexp_f32 v19, v19, v23
	v_cndmask_b32_e32 v19, 0, v19, vcc_lo
	v_cmp_ngt_f32_e32 vcc_lo, 0xc2ce8ed0, v17
	v_cndmask_b32_e32 v20, 0, v20, vcc_lo
	v_cmp_ngt_f32_e32 vcc_lo, 0xc2ce8ed0, v18
	v_cndmask_b32_e32 v21, 0, v21, vcc_lo
	v_cmp_nlt_f32_e32 vcc_lo, 0x42b17218, v7
	v_cndmask_b32_e32 v7, 0x7f800000, v19, vcc_lo
	v_cmp_nlt_f32_e32 vcc_lo, 0x42b17218, v17
	v_cndmask_b32_e32 v17, 0x7f800000, v20, vcc_lo
	v_cmp_ngt_f32_e32 vcc_lo, 0xc2ce8ed0, v6
	s_delay_alu instid0(VALU_DEP_2) | instskip(SKIP_3) | instid1(VALU_DEP_2)
	v_dual_add_f32 v20, v7, v17 :: v_dual_cndmask_b32 v19, 0, v22
	v_cmp_nlt_f32_e32 vcc_lo, 0x42b17218, v18
	v_cndmask_b32_e32 v18, 0x7f800000, v21, vcc_lo
	v_cmp_nlt_f32_e32 vcc_lo, 0x42b17218, v6
	v_dual_add_f32 v6, v18, v20 :: v_dual_cndmask_b32 v19, 0x7f800000, v19
	s_delay_alu instid0(VALU_DEP_1)
	v_add_f32_e32 v6, v19, v6
	ds_bpermute_b32 v5, v5, v6
	s_waitcnt lgkmcnt(0)
	v_add_f32_e32 v5, v6, v5
	ds_bpermute_b32 v6, v14, v5
	s_waitcnt lgkmcnt(0)
	;; [unrolled: 3-line block ×5, first 2 shown]
	v_add_f32_e32 v4, v5, v4
	s_delay_alu instid0(VALU_DEP_1) | instskip(SKIP_1) | instid1(VALU_DEP_2)
	v_div_scale_f32 v5, null, v4, v4, 1.0
	v_div_scale_f32 v15, vcc_lo, 1.0, v4, 1.0
	v_rcp_f32_e32 v6, v5
	s_waitcnt_depctr 0xfff
	v_fma_f32 v14, -v5, v6, 1.0
	s_delay_alu instid0(VALU_DEP_1) | instskip(NEXT) | instid1(VALU_DEP_1)
	v_fmac_f32_e32 v6, v14, v6
	v_mul_f32_e32 v14, v15, v6
	s_delay_alu instid0(VALU_DEP_1) | instskip(NEXT) | instid1(VALU_DEP_1)
	v_fma_f32 v16, -v5, v14, v15
	v_fmac_f32_e32 v14, v16, v6
	s_delay_alu instid0(VALU_DEP_1) | instskip(NEXT) | instid1(VALU_DEP_1)
	v_fma_f32 v5, -v5, v14, v15
	v_div_fmas_f32 v5, v5, v6, v14
	s_delay_alu instid0(VALU_DEP_1) | instskip(NEXT) | instid1(VALU_DEP_1)
	v_div_fixup_f32 v14, v5, v4, 1.0
	v_mul_f32_e32 v4, v7, v14
	v_mul_f32_e32 v5, v17, v14
	;; [unrolled: 1-line block ×4, first 2 shown]
	s_cbranch_execz .LBB7_6
	s_branch .LBB7_7
.LBB7_4:
	s_waitcnt vmcnt(3)
	v_mov_b32_e32 v4, v0
	s_branch .LBB7_8
.LBB7_5:
                                        ; implicit-def: $vgpr4
.LBB7_6:
	s_waitcnt vmcnt(2)
	v_dual_mul_f32 v4, 0xbfb8aa3b, v0 :: v_dual_mul_f32 v5, 0xbfb8aa3b, v1
	s_waitcnt vmcnt(0)
	v_dual_mul_f32 v6, 0xbfb8aa3b, v2 :: v_dual_mul_f32 v7, 0xbfb8aa3b, v3
	v_cmp_nlt_f32_e32 vcc_lo, 0x42ce8ed0, v0
	s_delay_alu instid0(VALU_DEP_3) | instskip(SKIP_4) | instid1(VALU_DEP_4)
	v_rndne_f32_e32 v14, v4
	v_fma_f32 v15, 0xbfb8aa3b, v0, -v4
	v_rndne_f32_e32 v16, v5
	v_fma_f32 v17, 0xbfb8aa3b, v1, -v5
	v_rndne_f32_e32 v18, v6
	v_dual_sub_f32 v4, v4, v14 :: v_dual_fmac_f32 v15, 0xb2a5705f, v0
	s_delay_alu instid0(VALU_DEP_4)
	v_sub_f32_e32 v5, v5, v16
	v_cvt_i32_f32_e32 v14, v14
	v_fma_f32 v19, 0xbfb8aa3b, v2, -v6
	v_dual_fmac_f32 v17, 0xb2a5705f, v1 :: v_dual_sub_f32 v6, v6, v18
	v_add_f32_e32 v4, v4, v15
	v_rndne_f32_e32 v20, v7
	v_fma_f32 v21, 0xbfb8aa3b, v3, -v7
	v_cvt_i32_f32_e32 v15, v18
	s_delay_alu instid0(VALU_DEP_4)
	v_exp_f32_e32 v4, v4
	s_waitcnt_depctr 0xfff
	v_ldexp_f32 v4, v4, v14
	v_fmac_f32_e32 v19, 0xb2a5705f, v2
	v_cvt_i32_f32_e32 v14, v16
	v_cvt_i32_f32_e32 v16, v20
	s_delay_alu instid0(VALU_DEP_4) | instskip(SKIP_3) | instid1(VALU_DEP_4)
	v_cndmask_b32_e32 v4, 0, v4, vcc_lo
	v_cmp_ngt_f32_e32 vcc_lo, 0xc2b17218, v0
	v_add_f32_e32 v5, v5, v17
	v_dual_sub_f32 v7, v7, v20 :: v_dual_add_f32 v6, v6, v19
	v_cndmask_b32_e32 v0, 0x7f800000, v4, vcc_lo
	s_delay_alu instid0(VALU_DEP_3) | instskip(SKIP_1) | instid1(VALU_DEP_3)
	v_exp_f32_e32 v5, v5
	v_cmp_nlt_f32_e32 vcc_lo, 0x42ce8ed0, v1
	v_exp_f32_e32 v6, v6
	s_delay_alu instid0(VALU_DEP_2) | instskip(SKIP_4) | instid1(VALU_DEP_3)
	v_add_f32_e32 v0, 1.0, v0
	s_waitcnt_depctr 0xfff
	v_ldexp_f32 v5, v5, v14
	v_fmac_f32_e32 v21, 0xb2a5705f, v3
	v_ldexp_f32 v6, v6, v15
	v_cndmask_b32_e32 v4, 0, v5, vcc_lo
	s_delay_alu instid0(VALU_DEP_3) | instskip(SKIP_1) | instid1(VALU_DEP_2)
	v_add_f32_e32 v7, v7, v21
	v_cmp_nlt_f32_e32 vcc_lo, 0x42ce8ed0, v2
	v_exp_f32_e32 v7, v7
	v_cndmask_b32_e32 v5, 0, v6, vcc_lo
	v_cmp_ngt_f32_e32 vcc_lo, 0xc2b17218, v1
	v_cndmask_b32_e32 v1, 0x7f800000, v4, vcc_lo
	v_cmp_ngt_f32_e32 vcc_lo, 0xc2b17218, v2
	v_div_scale_f32 v4, null, v0, v0, 1.0
	s_waitcnt_depctr 0xfff
	v_ldexp_f32 v7, v7, v16
	v_cndmask_b32_e32 v2, 0x7f800000, v5, vcc_lo
	v_cmp_nlt_f32_e32 vcc_lo, 0x42ce8ed0, v3
	v_rcp_f32_e32 v6, v4
	s_delay_alu instid0(VALU_DEP_3) | instskip(SKIP_1) | instid1(VALU_DEP_2)
	v_cndmask_b32_e32 v5, 0, v7, vcc_lo
	v_cmp_ngt_f32_e32 vcc_lo, 0xc2b17218, v3
	v_cndmask_b32_e32 v3, 0x7f800000, v5, vcc_lo
	s_waitcnt_depctr 0xfff
	v_fma_f32 v16, -v4, v6, 1.0
	v_dual_add_f32 v3, 1.0, v3 :: v_dual_add_f32 v2, 1.0, v2
	s_delay_alu instid0(VALU_DEP_2) | instskip(SKIP_1) | instid1(VALU_DEP_3)
	v_dual_add_f32 v1, 1.0, v1 :: v_dual_fmac_f32 v6, v16, v6
	v_div_scale_f32 v16, vcc_lo, 1.0, v0, 1.0
	v_div_scale_f32 v14, null, v2, v2, 1.0
	s_delay_alu instid0(VALU_DEP_3) | instskip(SKIP_1) | instid1(VALU_DEP_3)
	v_div_scale_f32 v7, null, v1, v1, 1.0
	v_div_scale_f32 v17, null, v3, v3, 1.0
	v_rcp_f32_e32 v15, v14
	s_delay_alu instid0(VALU_DEP_2) | instskip(SKIP_1) | instid1(VALU_DEP_2)
	v_rcp_f32_e32 v5, v7
	v_div_scale_f32 v21, s0, 1.0, v1, 1.0
	v_rcp_f32_e32 v19, v17
	s_delay_alu instid0(TRANS32_DEP_3) | instskip(SKIP_3) | instid1(VALU_DEP_2)
	v_fma_f32 v20, -v14, v15, 1.0
	s_waitcnt_depctr 0xfff
	v_fma_f32 v18, -v7, v5, 1.0
	v_fma_f32 v22, -v17, v19, 1.0
	v_dual_fmac_f32 v5, v18, v5 :: v_dual_mul_f32 v18, v16, v6
	v_fmac_f32_e32 v15, v20, v15
	v_div_scale_f32 v20, s1, 1.0, v2, 1.0
	s_delay_alu instid0(VALU_DEP_3) | instskip(NEXT) | instid1(VALU_DEP_4)
	v_mul_f32_e32 v24, v21, v5
	v_fma_f32 v23, -v4, v18, v16
	v_fmac_f32_e32 v19, v22, v19
	v_div_scale_f32 v22, s2, 1.0, v3, 1.0
	s_delay_alu instid0(VALU_DEP_3) | instskip(SKIP_2) | instid1(VALU_DEP_4)
	v_fmac_f32_e32 v18, v23, v6
	v_fma_f32 v23, -v7, v24, v21
	v_mul_f32_e32 v25, v20, v15
	v_mul_f32_e32 v27, v22, v19
	s_delay_alu instid0(VALU_DEP_4) | instskip(NEXT) | instid1(VALU_DEP_4)
	v_fma_f32 v4, -v4, v18, v16
	v_fmac_f32_e32 v24, v23, v5
	s_delay_alu instid0(VALU_DEP_4) | instskip(NEXT) | instid1(VALU_DEP_4)
	v_fma_f32 v26, -v14, v25, v20
	v_fma_f32 v16, -v17, v27, v22
	s_delay_alu instid0(VALU_DEP_4) | instskip(NEXT) | instid1(VALU_DEP_4)
	v_div_fmas_f32 v4, v4, v6, v18
	v_fma_f32 v6, -v7, v24, v21
	s_delay_alu instid0(VALU_DEP_4) | instskip(NEXT) | instid1(VALU_DEP_4)
	v_fmac_f32_e32 v25, v26, v15
	v_fmac_f32_e32 v27, v16, v19
	s_mov_b32 vcc_lo, s0
	v_div_fixup_f32 v4, v4, v0, 1.0
	v_div_fmas_f32 v5, v6, v5, v24
	v_fma_f32 v7, -v14, v25, v20
	v_fma_f32 v6, -v17, v27, v22
	s_mov_b32 vcc_lo, s1
	s_delay_alu instid0(VALU_DEP_3) | instskip(NEXT) | instid1(VALU_DEP_3)
	v_div_fixup_f32 v5, v5, v1, 1.0
	v_div_fmas_f32 v7, v7, v15, v25
	s_mov_b32 vcc_lo, s2
	v_div_fmas_f32 v14, v6, v19, v27
	s_delay_alu instid0(VALU_DEP_2) | instskip(NEXT) | instid1(VALU_DEP_2)
	v_div_fixup_f32 v6, v7, v2, 1.0
	v_div_fixup_f32 v7, v14, v3, 1.0
.LBB7_7:
	s_waitcnt vmcnt(0)
	v_dual_mov_b32 v0, v4 :: v_dual_mov_b32 v1, v5
	s_delay_alu instid0(VALU_DEP_2)
	v_dual_mov_b32 v2, v6 :: v_dual_mov_b32 v3, v7
.LBB7_8:
	v_lshrrev_b16 v5, 8, v13
	s_cmp_gt_i32 s17, 0
	s_delay_alu instid0(VALU_DEP_1)
	v_readfirstlane_b32 s1, v5
	s_cbranch_scc1 .LBB7_10
; %bb.9:
	s_delay_alu instid0(VALU_DEP_1)
	s_bitcmp1_b32 s1, 0
	s_mov_b32 s0, 0
	s_mov_b32 s2, 0
	s_cselect_b32 s3, -1, 0
	s_branch .LBB7_11
.LBB7_10:
	s_mov_b32 s0, -1
                                        ; implicit-def: $sgpr2
                                        ; implicit-def: $sgpr3
.LBB7_11:
	v_dual_mov_b32 v15, s2 :: v_dual_add_nc_u32 v14, 32, v12
	v_dual_mov_b32 v16, s2 :: v_dual_add_nc_u32 v13, 64, v12
	v_dual_mov_b32 v20, s2 :: v_dual_add_nc_u32 v7, 0x60, v12
	v_mbcnt_lo_u32_b32 v18, -1, 0
	v_mov_b32_e32 v17, s2
	v_mov_b32_e32 v19, s2
	s_and_not1_b32 vcc_lo, exec_lo, s0
	s_cbranch_vccnz .LBB7_38
; %bb.12:
	s_clause 0x3
	global_load_b32 v16, v11, s[10:11]
	global_load_b32 v24, v11, s[10:11] offset:128
	global_load_b32 v25, v11, s[10:11] offset:256
	;; [unrolled: 1-line block ×3, first 2 shown]
	v_add_co_u32 v5, vcc_lo, s8, v9
	v_xor_b32_e32 v9, 16, v18
	s_mov_b32 s0, 0xff7fffff
	v_add_co_ci_u32_e32 v6, vcc_lo, s9, v10, vcc_lo
	v_xor_b32_e32 v10, 8, v18
	v_dual_mov_b32 v17, 0 :: v_dual_mov_b32 v30, s0
	v_cmp_gt_i32_e64 s0, 32, v9
	v_xor_b32_e32 v27, 4, v18
	v_cmp_u_f32_e32 vcc_lo, v4, v4
	v_xor_b32_e32 v28, 2, v18
	s_waitcnt vmcnt(4)
	v_dual_mov_b32 v23, v3 :: v_dual_mov_b32 v22, v2
	v_cndmask_b32_e64 v4, v18, v9, s0
	v_cmp_gt_i32_e64 s0, 32, v10
	v_dual_mov_b32 v21, v1 :: v_dual_mov_b32 v20, v0
	v_dual_mov_b32 v15, 0 :: v_dual_cndmask_b32 v0, v0, v30
	s_delay_alu instid0(VALU_DEP_3) | instskip(SKIP_3) | instid1(VALU_DEP_4)
	v_cndmask_b32_e64 v9, v18, v10, s0
	v_cmp_gt_i32_e64 s0, 32, v27
	v_dual_cndmask_b32 v23, v3, v23 :: v_dual_cndmask_b32 v22, v2, v22
	v_xor_b32_e32 v29, 1, v18
	v_lshlrev_b32_e32 v2, 2, v9
	s_delay_alu instid0(VALU_DEP_4) | instskip(SKIP_4) | instid1(VALU_DEP_2)
	v_cndmask_b32_e64 v10, v18, v27, s0
	v_cmp_gt_i32_e64 s0, 32, v28
	v_dual_mov_b32 v20, 0 :: v_dual_mov_b32 v19, 0
	s_bitcmp1_b32 s1, 0
	s_mov_b32 s5, 0
	v_cndmask_b32_e64 v27, v18, v28, s0
	v_cndmask_b32_e32 v21, v1, v21, vcc_lo
	v_lshlrev_b32_e32 v1, 2, v4
	v_cmp_gt_i32_e64 s0, 32, v29
	s_cselect_b32 s3, -1, 0
	v_lshlrev_b32_e32 v4, 2, v27
	v_cmp_u_f32_e32 vcc_lo, v21, v21
	s_delay_alu instid0(VALU_DEP_3)
	v_cndmask_b32_e64 v28, v18, v29, s0
	v_cndmask_b32_e64 v9, v21, 0xff7fffff, vcc_lo
	v_cmp_o_f32_e32 vcc_lo, v22, v22
	v_lshlrev_b32_e32 v3, 2, v10
	v_cndmask_b32_e32 v10, 0xff7fffff, v22, vcc_lo
	v_cmp_o_f32_e32 vcc_lo, v23, v23
	v_dual_cndmask_b32 v21, 0xff7fffff, v23 :: v_dual_lshlrev_b32 v22, 2, v28
	s_waitcnt vmcnt(3)
	v_add_f32_e32 v23, v0, v16
	s_waitcnt vmcnt(1)
	v_dual_add_f32 v24, v9, v24 :: v_dual_add_f32 v25, v10, v25
	s_waitcnt vmcnt(0)
	v_add_f32_e32 v26, v21, v26
	v_mov_b32_e32 v16, v20
	s_branch .LBB7_14
.LBB7_13:                               ;   in Loop: Header=BB7_14 Depth=1
	s_or_b32 exec_lo, exec_lo, s0
	s_lshr_b32 s2, s5, 5
	s_and_b32 s8, s5, 31
	s_cmp_eq_u32 s2, 3
	s_cselect_b32 vcc_lo, -1, 0
	s_cmp_eq_u32 s2, 2
	s_cselect_b32 s0, -1, 0
	s_cmp_eq_u32 s2, 1
	s_waitcnt lgkmcnt(0)
	v_cndmask_b32_e64 v30, v15, v27, s0
	s_cselect_b32 s1, -1, 0
	s_cmp_eq_u32 s2, 0
	v_cndmask_b32_e64 v29, v17, v27, s1
	s_cselect_b32 s2, -1, 0
	s_add_i32 s5, s5, 1
	v_cndmask_b32_e64 v28, v19, v27, s2
	v_cmp_eq_u32_e64 s2, s8, v12
	v_cndmask_b32_e32 v27, v16, v27, vcc_lo
	v_add_co_u32 v5, vcc_lo, v5, 4
	v_add_co_ci_u32_e32 v6, vcc_lo, 0, v6, vcc_lo
	s_delay_alu instid0(VALU_DEP_4)
	v_cndmask_b32_e64 v19, v19, v28, s2
	v_cndmask_b32_e64 v17, v17, v29, s2
	;; [unrolled: 1-line block ×4, first 2 shown]
	s_cmp_eq_u32 s17, s5
	s_cbranch_scc1 .LBB7_38
.LBB7_14:                               ; =>This Inner Loop Header: Depth=1
	v_cmp_gt_f32_e32 vcc_lo, v24, v23
	s_mov_b32 s2, exec_lo
	v_dual_cndmask_b32 v27, v0, v9 :: v_dual_cndmask_b32 v28, v23, v24
	v_cndmask_b32_e32 v30, v12, v14, vcc_lo
	s_delay_alu instid0(VALU_DEP_2) | instskip(NEXT) | instid1(VALU_DEP_1)
	v_cmp_gt_f32_e64 s0, v25, v28
	v_cndmask_b32_e64 v28, v28, v25, s0
	s_delay_alu instid0(VALU_DEP_4) | instskip(NEXT) | instid1(VALU_DEP_2)
	v_cndmask_b32_e64 v27, v27, v10, s0
	v_cmp_gt_f32_e64 s1, v26, v28
	s_delay_alu instid0(VALU_DEP_1) | instskip(SKIP_1) | instid1(VALU_DEP_4)
	v_cndmask_b32_e64 v29, v28, v26, s1
	v_cndmask_b32_e64 v28, v30, v13, s0
	;; [unrolled: 1-line block ×3, first 2 shown]
	ds_bpermute_b32 v30, v1, v29
	v_cndmask_b32_e64 v28, v28, v7, s1
	ds_bpermute_b32 v32, v1, v27
	ds_bpermute_b32 v31, v1, v28
	s_waitcnt lgkmcnt(2)
	v_cmp_lt_f32_e64 s1, v29, v30
	v_cmpx_nlt_f32_e32 v29, v30
	s_cbranch_execz .LBB7_16
; %bb.15:                               ;   in Loop: Header=BB7_14 Depth=1
	v_cmp_eq_f32_e32 vcc_lo, v29, v30
	s_waitcnt lgkmcnt(0)
	v_cmp_lt_i32_e64 s0, v31, v28
	s_and_not1_b32 s1, s1, exec_lo
	s_delay_alu instid0(VALU_DEP_1) | instskip(NEXT) | instid1(SALU_CYCLE_1)
	s_and_b32 s0, vcc_lo, s0
	s_and_b32 s0, s0, exec_lo
	s_delay_alu instid0(SALU_CYCLE_1)
	s_or_b32 s1, s1, s0
.LBB7_16:                               ;   in Loop: Header=BB7_14 Depth=1
	s_or_b32 exec_lo, exec_lo, s2
	s_delay_alu instid0(VALU_DEP_2)
	s_and_saveexec_b32 s0, s1
	s_cbranch_execz .LBB7_18
; %bb.17:                               ;   in Loop: Header=BB7_14 Depth=1
	s_waitcnt lgkmcnt(0)
	v_dual_mov_b32 v29, v30 :: v_dual_mov_b32 v28, v31
	v_mov_b32_e32 v27, v32
.LBB7_18:                               ;   in Loop: Header=BB7_14 Depth=1
	s_or_b32 exec_lo, exec_lo, s0
	s_waitcnt lgkmcnt(1)
	ds_bpermute_b32 v32, v2, v29
	s_waitcnt lgkmcnt(1)
	ds_bpermute_b32 v31, v2, v27
	ds_bpermute_b32 v30, v2, v28
	s_mov_b32 s2, exec_lo
	s_waitcnt lgkmcnt(2)
	v_cmp_lt_f32_e64 s1, v29, v32
	v_cmpx_nlt_f32_e32 v29, v32
	s_cbranch_execz .LBB7_20
; %bb.19:                               ;   in Loop: Header=BB7_14 Depth=1
	v_cmp_eq_f32_e32 vcc_lo, v29, v32
	s_waitcnt lgkmcnt(0)
	v_cmp_lt_i32_e64 s0, v30, v28
	s_and_not1_b32 s1, s1, exec_lo
	s_delay_alu instid0(VALU_DEP_1) | instskip(NEXT) | instid1(SALU_CYCLE_1)
	s_and_b32 s0, vcc_lo, s0
	s_and_b32 s0, s0, exec_lo
	s_delay_alu instid0(SALU_CYCLE_1)
	s_or_b32 s1, s1, s0
.LBB7_20:                               ;   in Loop: Header=BB7_14 Depth=1
	s_or_b32 exec_lo, exec_lo, s2
	s_delay_alu instid0(VALU_DEP_2)
	s_and_saveexec_b32 s0, s1
	s_cbranch_execz .LBB7_22
; %bb.21:                               ;   in Loop: Header=BB7_14 Depth=1
	s_waitcnt lgkmcnt(0)
	v_dual_mov_b32 v29, v32 :: v_dual_mov_b32 v28, v30
	v_mov_b32_e32 v27, v31
.LBB7_22:                               ;   in Loop: Header=BB7_14 Depth=1
	s_or_b32 exec_lo, exec_lo, s0
	ds_bpermute_b32 v32, v3, v29
	s_waitcnt lgkmcnt(2)
	ds_bpermute_b32 v31, v3, v27
	s_waitcnt lgkmcnt(2)
	ds_bpermute_b32 v30, v3, v28
	s_mov_b32 s2, exec_lo
	s_waitcnt lgkmcnt(2)
	v_cmp_lt_f32_e64 s1, v29, v32
	v_cmpx_nlt_f32_e32 v29, v32
	s_cbranch_execz .LBB7_24
; %bb.23:                               ;   in Loop: Header=BB7_14 Depth=1
	v_cmp_eq_f32_e32 vcc_lo, v29, v32
	s_waitcnt lgkmcnt(0)
	v_cmp_lt_i32_e64 s0, v30, v28
	s_and_not1_b32 s1, s1, exec_lo
	s_delay_alu instid0(VALU_DEP_1) | instskip(NEXT) | instid1(SALU_CYCLE_1)
	s_and_b32 s0, vcc_lo, s0
	s_and_b32 s0, s0, exec_lo
	s_delay_alu instid0(SALU_CYCLE_1)
	s_or_b32 s1, s1, s0
.LBB7_24:                               ;   in Loop: Header=BB7_14 Depth=1
	s_or_b32 exec_lo, exec_lo, s2
	s_delay_alu instid0(VALU_DEP_2)
	s_and_saveexec_b32 s0, s1
	s_cbranch_execz .LBB7_26
; %bb.25:                               ;   in Loop: Header=BB7_14 Depth=1
	s_waitcnt lgkmcnt(0)
	v_dual_mov_b32 v29, v32 :: v_dual_mov_b32 v28, v30
	v_mov_b32_e32 v27, v31
.LBB7_26:                               ;   in Loop: Header=BB7_14 Depth=1
	s_or_b32 exec_lo, exec_lo, s0
	ds_bpermute_b32 v32, v4, v29
	s_waitcnt lgkmcnt(2)
	ds_bpermute_b32 v31, v4, v27
	s_waitcnt lgkmcnt(2)
	ds_bpermute_b32 v30, v4, v28
	s_mov_b32 s2, exec_lo
	s_waitcnt lgkmcnt(2)
	v_cmp_lt_f32_e64 s1, v29, v32
	v_cmpx_nlt_f32_e32 v29, v32
	s_cbranch_execz .LBB7_28
; %bb.27:                               ;   in Loop: Header=BB7_14 Depth=1
	v_cmp_eq_f32_e32 vcc_lo, v29, v32
	s_waitcnt lgkmcnt(0)
	v_cmp_lt_i32_e64 s0, v30, v28
	s_and_not1_b32 s1, s1, exec_lo
	s_delay_alu instid0(VALU_DEP_1) | instskip(NEXT) | instid1(SALU_CYCLE_1)
	s_and_b32 s0, vcc_lo, s0
	s_and_b32 s0, s0, exec_lo
	s_delay_alu instid0(SALU_CYCLE_1)
	s_or_b32 s1, s1, s0
.LBB7_28:                               ;   in Loop: Header=BB7_14 Depth=1
	s_or_b32 exec_lo, exec_lo, s2
	s_delay_alu instid0(VALU_DEP_2)
	s_and_saveexec_b32 s0, s1
	s_cbranch_execz .LBB7_30
; %bb.29:                               ;   in Loop: Header=BB7_14 Depth=1
	s_waitcnt lgkmcnt(0)
	v_dual_mov_b32 v29, v32 :: v_dual_mov_b32 v28, v30
	v_mov_b32_e32 v27, v31
.LBB7_30:                               ;   in Loop: Header=BB7_14 Depth=1
	s_or_b32 exec_lo, exec_lo, s0
	ds_bpermute_b32 v32, v22, v29
	s_waitcnt lgkmcnt(2)
	ds_bpermute_b32 v31, v22, v27
	s_waitcnt lgkmcnt(2)
	ds_bpermute_b32 v30, v22, v28
	s_mov_b32 s2, exec_lo
	s_waitcnt lgkmcnt(2)
	v_cmp_lt_f32_e64 s1, v29, v32
	v_cmpx_nlt_f32_e32 v29, v32
	s_cbranch_execz .LBB7_32
; %bb.31:                               ;   in Loop: Header=BB7_14 Depth=1
	v_cmp_eq_f32_e32 vcc_lo, v29, v32
	s_waitcnt lgkmcnt(0)
	v_cmp_lt_i32_e64 s0, v30, v28
	s_and_not1_b32 s1, s1, exec_lo
	s_delay_alu instid0(VALU_DEP_1) | instskip(NEXT) | instid1(SALU_CYCLE_1)
	s_and_b32 s0, vcc_lo, s0
	s_and_b32 s0, s0, exec_lo
	s_delay_alu instid0(SALU_CYCLE_1)
	s_or_b32 s1, s1, s0
.LBB7_32:                               ;   in Loop: Header=BB7_14 Depth=1
	s_or_b32 exec_lo, exec_lo, s2
	s_delay_alu instid0(VALU_DEP_2)
	s_and_saveexec_b32 s0, s1
	s_cbranch_execz .LBB7_34
; %bb.33:                               ;   in Loop: Header=BB7_14 Depth=1
	s_waitcnt lgkmcnt(0)
	v_dual_mov_b32 v27, v31 :: v_dual_mov_b32 v28, v30
.LBB7_34:                               ;   in Loop: Header=BB7_14 Depth=1
	s_or_b32 exec_lo, exec_lo, s0
	s_delay_alu instid0(VALU_DEP_1) | instskip(NEXT) | instid1(VALU_DEP_1)
	v_and_b32_e32 v29, 31, v28
	v_cmp_eq_u32_e32 vcc_lo, v29, v12
	s_and_saveexec_b32 s1, vcc_lo
	s_cbranch_execz .LBB7_36
; %bb.35:                               ;   in Loop: Header=BB7_14 Depth=1
	v_ashrrev_i32_e32 v29, 31, v28
	s_delay_alu instid0(VALU_DEP_1) | instskip(NEXT) | instid1(VALU_DEP_1)
	v_lshrrev_b32_e32 v29, 27, v29
	v_add_nc_u32_e32 v29, v28, v29
	s_delay_alu instid0(VALU_DEP_1) | instskip(NEXT) | instid1(VALU_DEP_1)
	v_ashrrev_i32_e32 v29, 5, v29
	v_cmp_ne_u32_e64 s0, 3, v29
	s_delay_alu instid0(VALU_DEP_1) | instskip(SKIP_1) | instid1(VALU_DEP_1)
	v_cndmask_b32_e64 v26, 0xff800000, v26, s0
	v_cmp_ne_u32_e64 s0, 2, v29
	v_cndmask_b32_e64 v25, 0xff800000, v25, s0
	v_cmp_ne_u32_e64 s0, 1, v29
	s_delay_alu instid0(VALU_DEP_1) | instskip(SKIP_1) | instid1(VALU_DEP_1)
	v_cndmask_b32_e64 v24, 0xff800000, v24, s0
	v_cmp_ne_u32_e64 s0, 0, v29
	v_cndmask_b32_e64 v23, 0xff800000, v23, s0
.LBB7_36:                               ;   in Loop: Header=BB7_14 Depth=1
	s_or_b32 exec_lo, exec_lo, s1
	s_and_saveexec_b32 s0, vcc_lo
	s_cbranch_execz .LBB7_13
; %bb.37:                               ;   in Loop: Header=BB7_14 Depth=1
	v_add_f32_e32 v29, v20, v27
	global_store_b32 v[5:6], v28, off
	v_cndmask_b32_e64 v20, v20, v29, s3
	s_branch .LBB7_13
.LBB7_38:
	s_and_b32 vcc_lo, exec_lo, s3
	s_cbranch_vccz .LBB7_40
; %bb.39:
	v_xor_b32_e32 v0, 16, v18
	s_waitcnt vmcnt(2)
	v_xor_b32_e32 v1, 8, v18
	s_waitcnt vmcnt(1)
	v_xor_b32_e32 v2, 4, v18
	v_cmp_gt_i32_e32 vcc_lo, 32, v0
	v_cndmask_b32_e32 v0, v18, v0, vcc_lo
	v_cmp_gt_i32_e32 vcc_lo, 32, v1
	v_cndmask_b32_e32 v1, v18, v1, vcc_lo
	v_cmp_gt_i32_e32 vcc_lo, 32, v2
	s_delay_alu instid0(VALU_DEP_2)
	v_lshlrev_b32_e32 v1, 2, v1
	v_lshlrev_b32_e32 v0, 2, v0
	v_cndmask_b32_e32 v2, v18, v2, vcc_lo
	ds_bpermute_b32 v0, v0, v20
	v_lshlrev_b32_e32 v2, 2, v2
	s_waitcnt lgkmcnt(0)
	v_add_f32_e32 v0, v20, v0
	ds_bpermute_b32 v1, v1, v0
	s_waitcnt lgkmcnt(0)
	v_add_f32_e32 v0, v0, v1
	ds_bpermute_b32 v1, v2, v0
	v_xor_b32_e32 v2, 2, v18
	s_delay_alu instid0(VALU_DEP_1) | instskip(SKIP_1) | instid1(VALU_DEP_1)
	v_cmp_gt_i32_e32 vcc_lo, 32, v2
	v_cndmask_b32_e32 v2, v18, v2, vcc_lo
	v_lshlrev_b32_e32 v2, 2, v2
	s_waitcnt lgkmcnt(0)
	v_add_f32_e32 v0, v0, v1
	ds_bpermute_b32 v1, v2, v0
	v_xor_b32_e32 v2, 1, v18
	s_delay_alu instid0(VALU_DEP_1) | instskip(SKIP_1) | instid1(VALU_DEP_1)
	v_cmp_gt_i32_e32 vcc_lo, 32, v2
	v_cndmask_b32_e32 v2, v18, v2, vcc_lo
	v_lshlrev_b32_e32 v2, 2, v2
	s_waitcnt lgkmcnt(0)
	v_add_f32_e32 v0, v0, v1
	ds_bpermute_b32 v1, v2, v0
	v_max_f32_e64 v2, s18, s18
	s_waitcnt lgkmcnt(0)
	v_add_f32_e32 v0, v0, v1
	s_delay_alu instid0(VALU_DEP_1) | instskip(NEXT) | instid1(VALU_DEP_1)
	v_max_f32_e32 v0, v0, v2
	v_div_scale_f32 v1, null, v0, v0, 1.0
	v_div_scale_f32 v4, vcc_lo, 1.0, v0, 1.0
	s_delay_alu instid0(VALU_DEP_2) | instskip(SKIP_3) | instid1(VALU_DEP_1)
	v_rcp_f32_e32 v2, v1
	s_waitcnt vmcnt(0)
	s_waitcnt_depctr 0xfff
	v_fma_f32 v3, -v1, v2, 1.0
	v_fmac_f32_e32 v2, v3, v2
	s_delay_alu instid0(VALU_DEP_1) | instskip(NEXT) | instid1(VALU_DEP_1)
	v_mul_f32_e32 v3, v4, v2
	v_fma_f32 v5, -v1, v3, v4
	s_delay_alu instid0(VALU_DEP_1) | instskip(NEXT) | instid1(VALU_DEP_1)
	v_fmac_f32_e32 v3, v5, v2
	v_fma_f32 v1, -v1, v3, v4
	s_delay_alu instid0(VALU_DEP_1) | instskip(NEXT) | instid1(VALU_DEP_1)
	v_div_fmas_f32 v1, v1, v2, v3
	v_div_fixup_f32 v0, v1, v0, 1.0
	s_delay_alu instid0(VALU_DEP_1)
	v_mul_f32_e32 v15, v0, v15
	v_mul_f32_e32 v19, v0, v19
	;; [unrolled: 1-line block ×4, first 2 shown]
.LBB7_40:
	v_cmp_gt_i32_e64 s0, s17, v14
	v_cmp_gt_i32_e64 s1, s17, v13
	;; [unrolled: 1-line block ×4, first 2 shown]
	s_and_not1_b32 vcc_lo, exec_lo, s4
	s_cbranch_vccnz .LBB7_42
; %bb.41:
	s_waitcnt vmcnt(2)
	v_dual_max_f32 v0, v19, v19 :: v_dual_max_f32 v1, v17, v17
	v_xor_b32_e32 v4, 4, v18
	s_waitcnt vmcnt(0)
	v_max_f32_e32 v3, v16, v16
	v_xor_b32_e32 v5, 2, v18
	v_max_f32_e32 v0, 0xff800000, v0
	v_xor_b32_e32 v6, 1, v18
	v_cndmask_b32_e64 v10, v15, v15, s0
	v_cndmask_b32_e64 v16, v16, v16, s0
	s_mov_b32 s4, 0
	v_cndmask_b32_e64 v0, 0xff800000, v0, s3
	s_delay_alu instid0(VALU_DEP_1) | instskip(NEXT) | instid1(VALU_DEP_1)
	v_dual_max_f32 v2, v15, v15 :: v_dual_max_f32 v1, v0, v1
	v_cndmask_b32_e64 v0, v0, v1, s0
	s_delay_alu instid0(VALU_DEP_1) | instskip(SKIP_1) | instid1(VALU_DEP_2)
	v_max_f32_e32 v1, v0, v2
	v_xor_b32_e32 v2, 16, v18
	v_cndmask_b32_e64 v0, v0, v1, s1
	s_delay_alu instid0(VALU_DEP_2) | instskip(NEXT) | instid1(VALU_DEP_2)
	v_cmp_gt_i32_e32 vcc_lo, 32, v2
	v_dual_cndmask_b32 v1, v18, v2 :: v_dual_max_f32 v2, v0, v3
	v_xor_b32_e32 v3, 8, v18
	s_delay_alu instid0(VALU_DEP_2) | instskip(NEXT) | instid1(VALU_DEP_3)
	v_lshlrev_b32_e32 v1, 2, v1
	v_cndmask_b32_e64 v0, v0, v2, s2
	s_delay_alu instid0(VALU_DEP_3)
	v_cmp_gt_i32_e32 vcc_lo, 32, v3
	ds_bpermute_b32 v2, v1, v0
	s_waitcnt lgkmcnt(0)
	v_max_f32_e32 v2, v2, v2
	v_cndmask_b32_e32 v3, v18, v3, vcc_lo
	v_cmp_gt_i32_e32 vcc_lo, 32, v4
	s_delay_alu instid0(VALU_DEP_2)
	v_dual_max_f32 v0, v0, v2 :: v_dual_lshlrev_b32 v3, 2, v3
	v_cndmask_b32_e32 v4, v18, v4, vcc_lo
	v_cmp_gt_i32_e32 vcc_lo, 32, v5
	ds_bpermute_b32 v2, v3, v0
	v_dual_cndmask_b32 v5, v18, v5 :: v_dual_lshlrev_b32 v4, 2, v4
	v_cmp_gt_i32_e32 vcc_lo, 32, v6
	s_delay_alu instid0(VALU_DEP_2) | instskip(NEXT) | instid1(VALU_DEP_1)
	v_dual_cndmask_b32 v6, v18, v6 :: v_dual_lshlrev_b32 v5, 2, v5
	v_lshlrev_b32_e32 v6, 2, v6
	s_waitcnt lgkmcnt(0)
	v_max_f32_e32 v2, v2, v2
	s_delay_alu instid0(VALU_DEP_1) | instskip(SKIP_3) | instid1(VALU_DEP_1)
	v_max_f32_e32 v0, v0, v2
	ds_bpermute_b32 v2, v4, v0
	s_waitcnt lgkmcnt(0)
	v_max_f32_e32 v2, v2, v2
	v_max_f32_e32 v0, v0, v2
	ds_bpermute_b32 v2, v5, v0
	s_waitcnt lgkmcnt(0)
	v_max_f32_e32 v2, v2, v2
	s_delay_alu instid0(VALU_DEP_1) | instskip(SKIP_3) | instid1(VALU_DEP_1)
	v_max_f32_e32 v0, v0, v2
	ds_bpermute_b32 v2, v6, v0
	s_waitcnt lgkmcnt(0)
	v_max_f32_e32 v2, v2, v2
	v_max_f32_e32 v0, v0, v2
	s_delay_alu instid0(VALU_DEP_1) | instskip(NEXT) | instid1(VALU_DEP_1)
	v_sub_f32_e32 v2, v19, v0
	v_mul_f32_e32 v15, 0x3fb8aa3b, v2
	v_cmp_ngt_f32_e32 vcc_lo, 0xc2ce8ed0, v2
	s_delay_alu instid0(VALU_DEP_2) | instskip(SKIP_1) | instid1(VALU_DEP_1)
	v_fma_f32 v18, 0x3fb8aa3b, v2, -v15
	v_rndne_f32_e32 v19, v15
	v_dual_fmac_f32 v18, 0x32a5705f, v2 :: v_dual_sub_f32 v15, v15, v19
	v_cvt_i32_f32_e32 v19, v19
	s_delay_alu instid0(VALU_DEP_2) | instskip(NEXT) | instid1(VALU_DEP_1)
	v_add_f32_e32 v15, v15, v18
	v_exp_f32_e32 v15, v15
	s_waitcnt_depctr 0xfff
	v_ldexp_f32 v15, v15, v19
	s_delay_alu instid0(VALU_DEP_1) | instskip(SKIP_2) | instid1(VALU_DEP_2)
	v_cndmask_b32_e32 v15, 0, v15, vcc_lo
	v_sub_f32_e32 v9, v17, v0
	v_sub_f32_e32 v10, v10, v0
	v_dual_sub_f32 v0, v16, v0 :: v_dual_mul_f32 v17, 0x3fb8aa3b, v9
	s_delay_alu instid0(VALU_DEP_2) | instskip(SKIP_1) | instid1(VALU_DEP_3)
	v_mul_f32_e32 v21, 0x3fb8aa3b, v10
	v_cmp_ngt_f32_e32 vcc_lo, 0xc2ce8ed0, v9
	v_mul_f32_e32 v22, 0x3fb8aa3b, v0
	s_delay_alu instid0(VALU_DEP_4) | instskip(SKIP_4) | instid1(VALU_DEP_4)
	v_fma_f32 v16, 0x3fb8aa3b, v9, -v17
	v_rndne_f32_e32 v20, v17
	v_fma_f32 v18, 0x3fb8aa3b, v10, -v21
	v_rndne_f32_e32 v23, v21
	v_rndne_f32_e32 v24, v22
	v_dual_fmac_f32 v16, 0x32a5705f, v9 :: v_dual_sub_f32 v17, v17, v20
	v_cvt_i32_f32_e32 v20, v20
	s_delay_alu instid0(VALU_DEP_4) | instskip(NEXT) | instid1(VALU_DEP_4)
	v_dual_fmac_f32 v18, 0x32a5705f, v10 :: v_dual_sub_f32 v21, v21, v23
	v_sub_f32_e32 v19, v22, v24
	s_delay_alu instid0(VALU_DEP_4) | instskip(SKIP_1) | instid1(VALU_DEP_2)
	v_add_f32_e32 v16, v17, v16
	v_fma_f32 v17, 0x3fb8aa3b, v0, -v22
	v_exp_f32_e32 v16, v16
	s_delay_alu instid0(VALU_DEP_1) | instskip(NEXT) | instid1(VALU_DEP_1)
	v_fmac_f32_e32 v17, 0x32a5705f, v0
	v_add_f32_e32 v17, v19, v17
	s_waitcnt_depctr 0xfff
	v_ldexp_f32 v16, v16, v20
	s_delay_alu instid0(VALU_DEP_1)
	v_cndmask_b32_e32 v16, 0, v16, vcc_lo
	v_cmp_nlt_f32_e32 vcc_lo, 0x42b17218, v2
	v_cndmask_b32_e32 v2, 0x7f800000, v15, vcc_lo
	v_cmp_nlt_f32_e32 vcc_lo, 0x42b17218, v9
	v_add_f32_e32 v18, v21, v18
	v_cvt_i32_f32_e32 v21, v23
	v_exp_f32_e32 v15, v17
	v_cndmask_b32_e64 v2, 0, v2, s3
	v_cndmask_b32_e32 v9, 0x7f800000, v16, vcc_lo
	v_exp_f32_e32 v18, v18
	v_cmp_ngt_f32_e32 vcc_lo, 0xc2ce8ed0, v10
	v_cvt_i32_f32_e32 v16, v24
	s_waitcnt_depctr 0xfff
	v_ldexp_f32 v15, v15, v16
	v_ldexp_f32 v17, v18, v21
	s_delay_alu instid0(VALU_DEP_1) | instskip(SKIP_1) | instid1(VALU_DEP_2)
	v_dual_add_f32 v18, v9, v2 :: v_dual_cndmask_b32 v17, 0, v17
	v_cmp_nlt_f32_e32 vcc_lo, 0x42b17218, v10
	v_cndmask_b32_e64 v16, v2, v18, s0
	s_delay_alu instid0(VALU_DEP_3) | instskip(SKIP_1) | instid1(VALU_DEP_2)
	v_cndmask_b32_e32 v10, 0x7f800000, v17, vcc_lo
	v_cmp_ngt_f32_e32 vcc_lo, 0xc2ce8ed0, v0
	v_add_f32_e32 v17, v16, v10
	v_cndmask_b32_e32 v15, 0, v15, vcc_lo
	v_cmp_nlt_f32_e32 vcc_lo, 0x42b17218, v0
	s_delay_alu instid0(VALU_DEP_2) | instskip(NEXT) | instid1(VALU_DEP_4)
	v_cndmask_b32_e32 v0, 0x7f800000, v15, vcc_lo
	v_cndmask_b32_e64 v15, v16, v17, s1
	s_delay_alu instid0(VALU_DEP_1) | instskip(NEXT) | instid1(VALU_DEP_1)
	v_add_f32_e32 v16, v15, v0
	v_cndmask_b32_e64 v15, v15, v16, s2
	ds_bpermute_b32 v1, v1, v15
	s_waitcnt lgkmcnt(0)
	v_add_f32_e32 v1, v15, v1
	ds_bpermute_b32 v3, v3, v1
	s_waitcnt lgkmcnt(0)
	v_add_f32_e32 v1, v1, v3
	;; [unrolled: 3-line block ×5, first 2 shown]
	s_delay_alu instid0(VALU_DEP_1) | instskip(SKIP_1) | instid1(VALU_DEP_2)
	v_div_scale_f32 v3, null, v1, v1, 1.0
	v_div_scale_f32 v6, vcc_lo, 1.0, v1, 1.0
	v_rcp_f32_e32 v4, v3
	s_waitcnt_depctr 0xfff
	v_fma_f32 v5, -v3, v4, 1.0
	s_delay_alu instid0(VALU_DEP_1) | instskip(NEXT) | instid1(VALU_DEP_1)
	v_fmac_f32_e32 v4, v5, v4
	v_mul_f32_e32 v5, v6, v4
	s_delay_alu instid0(VALU_DEP_1) | instskip(NEXT) | instid1(VALU_DEP_1)
	v_fma_f32 v15, -v3, v5, v6
	v_fmac_f32_e32 v5, v15, v4
	s_delay_alu instid0(VALU_DEP_1) | instskip(SKIP_1) | instid1(VALU_DEP_2)
	v_fma_f32 v3, -v3, v5, v6
	v_mov_b32_e32 v6, s4
	v_div_fmas_f32 v3, v3, v4, v5
	v_mov_b32_e32 v5, s4
	s_delay_alu instid0(VALU_DEP_3) | instskip(SKIP_1) | instid1(VALU_DEP_4)
	v_cndmask_b32_e64 v6, v6, v9, s0
	v_cndmask_b32_e64 v9, 0, v9, s0
	v_div_fixup_f32 v1, v3, v1, 1.0
	s_delay_alu instid0(VALU_DEP_1) | instskip(NEXT) | instid1(VALU_DEP_1)
	v_dual_mov_b32 v4, s4 :: v_dual_mul_f32 v9, v9, v1
	v_cndmask_b32_e64 v3, v4, v10, s1
	v_cndmask_b32_e64 v4, 0, v10, s1
	;; [unrolled: 1-line block ×4, first 2 shown]
	v_mul_f32_e32 v5, v2, v1
	v_cndmask_b32_e64 v17, v6, v9, s0
	v_mul_f32_e32 v4, v4, v1
	v_mul_f32_e32 v1, v10, v1
	s_delay_alu instid0(VALU_DEP_4) | instskip(NEXT) | instid1(VALU_DEP_3)
	v_cndmask_b32_e64 v19, v2, v5, s3
	v_cndmask_b32_e64 v15, v3, v4, s1
	s_delay_alu instid0(VALU_DEP_3)
	v_cndmask_b32_e64 v16, v0, v1, s2
.LBB7_42:
	v_mul_lo_u32 v0, v8, s17
	s_mov_b32 s0, exec_lo
	s_waitcnt vmcnt(2)
	s_delay_alu instid0(VALU_DEP_1) | instskip(NEXT) | instid1(VALU_DEP_1)
	v_ashrrev_i32_e32 v1, 31, v0
	v_lshlrev_b64 v[0:1], 2, v[0:1]
	s_delay_alu instid0(VALU_DEP_1) | instskip(NEXT) | instid1(VALU_DEP_2)
	v_add_co_u32 v0, vcc_lo, s6, v0
	v_add_co_ci_u32_e32 v1, vcc_lo, s7, v1, vcc_lo
	v_cmpx_gt_i32_e64 s17, v12
	s_cbranch_execnz .LBB7_48
; %bb.43:
	s_or_b32 exec_lo, exec_lo, s0
	s_delay_alu instid0(SALU_CYCLE_1)
	s_mov_b32 s0, exec_lo
	v_cmpx_gt_i32_e64 s17, v14
	s_cbranch_execnz .LBB7_49
.LBB7_44:
	s_or_b32 exec_lo, exec_lo, s0
	s_delay_alu instid0(SALU_CYCLE_1)
	s_mov_b32 s0, exec_lo
	v_cmpx_gt_i32_e64 s17, v13
	s_cbranch_execnz .LBB7_50
.LBB7_45:
	s_or_b32 exec_lo, exec_lo, s0
	v_cmp_gt_i32_e32 vcc_lo, s17, v7
	s_and_b32 exec_lo, exec_lo, vcc_lo
	s_cbranch_execz .LBB7_47
.LBB7_46:
	v_add_co_u32 v0, vcc_lo, v0, v11
	v_add_co_ci_u32_e32 v1, vcc_lo, 0, v1, vcc_lo
	s_waitcnt vmcnt(1)
	v_mul_f32_e32 v2, s19, v16
	global_store_b32 v[0:1], v2, off offset:384
.LBB7_47:
	s_nop 0
	s_sendmsg sendmsg(MSG_DEALLOC_VGPRS)
	s_endpgm
.LBB7_48:
	s_waitcnt vmcnt(1)
	v_add_co_u32 v2, vcc_lo, v0, v11
	s_waitcnt vmcnt(0)
	v_add_co_ci_u32_e32 v3, vcc_lo, 0, v1, vcc_lo
	v_mul_f32_e32 v4, s19, v19
	global_store_b32 v[2:3], v4, off
	s_or_b32 exec_lo, exec_lo, s0
	s_delay_alu instid0(SALU_CYCLE_1)
	s_mov_b32 s0, exec_lo
	v_cmpx_gt_i32_e64 s17, v14
	s_cbranch_execz .LBB7_44
.LBB7_49:
	s_waitcnt vmcnt(1)
	v_add_co_u32 v2, vcc_lo, v0, v11
	s_waitcnt vmcnt(0)
	v_add_co_ci_u32_e32 v3, vcc_lo, 0, v1, vcc_lo
	v_mul_f32_e32 v4, s19, v17
	global_store_b32 v[2:3], v4, off offset:128
	s_or_b32 exec_lo, exec_lo, s0
	s_delay_alu instid0(SALU_CYCLE_1)
	s_mov_b32 s0, exec_lo
	v_cmpx_gt_i32_e64 s17, v13
	s_cbranch_execz .LBB7_45
.LBB7_50:
	s_waitcnt vmcnt(1)
	v_add_co_u32 v2, vcc_lo, v0, v11
	s_waitcnt vmcnt(0)
	v_add_co_ci_u32_e32 v3, vcc_lo, 0, v1, vcc_lo
	v_mul_f32_e32 v4, s19, v15
	global_store_b32 v[2:3], v4, off offset:256
	s_or_b32 exec_lo, exec_lo, s0
	v_cmp_gt_i32_e32 vcc_lo, s17, v7
	s_and_b32 exec_lo, exec_lo, vcc_lo
	s_cbranch_execnz .LBB7_46
	s_branch .LBB7_47
	.section	.rodata,"a",@progbits
	.p2align	6, 0x0
	.amdhsa_kernel _Z13topk_moe_cudaILi128ELb1EEvPKfPfPiS2_iiff15topk_moe_config
		.amdhsa_group_segment_fixed_size 0
		.amdhsa_private_segment_fixed_size 0
		.amdhsa_kernarg_size 312
		.amdhsa_user_sgpr_count 15
		.amdhsa_user_sgpr_dispatch_ptr 0
		.amdhsa_user_sgpr_queue_ptr 0
		.amdhsa_user_sgpr_kernarg_segment_ptr 1
		.amdhsa_user_sgpr_dispatch_id 0
		.amdhsa_user_sgpr_private_segment_size 0
		.amdhsa_wavefront_size32 1
		.amdhsa_uses_dynamic_stack 0
		.amdhsa_enable_private_segment 0
		.amdhsa_system_sgpr_workgroup_id_x 1
		.amdhsa_system_sgpr_workgroup_id_y 0
		.amdhsa_system_sgpr_workgroup_id_z 0
		.amdhsa_system_sgpr_workgroup_info 0
		.amdhsa_system_vgpr_workitem_id 1
		.amdhsa_next_free_vgpr 33
		.amdhsa_next_free_sgpr 20
		.amdhsa_reserve_vcc 1
		.amdhsa_float_round_mode_32 0
		.amdhsa_float_round_mode_16_64 0
		.amdhsa_float_denorm_mode_32 3
		.amdhsa_float_denorm_mode_16_64 3
		.amdhsa_dx10_clamp 1
		.amdhsa_ieee_mode 1
		.amdhsa_fp16_overflow 0
		.amdhsa_workgroup_processor_mode 1
		.amdhsa_memory_ordered 1
		.amdhsa_forward_progress 0
		.amdhsa_shared_vgpr_count 0
		.amdhsa_exception_fp_ieee_invalid_op 0
		.amdhsa_exception_fp_denorm_src 0
		.amdhsa_exception_fp_ieee_div_zero 0
		.amdhsa_exception_fp_ieee_overflow 0
		.amdhsa_exception_fp_ieee_underflow 0
		.amdhsa_exception_fp_ieee_inexact 0
		.amdhsa_exception_int_div_zero 0
	.end_amdhsa_kernel
	.section	.text._Z13topk_moe_cudaILi128ELb1EEvPKfPfPiS2_iiff15topk_moe_config,"axG",@progbits,_Z13topk_moe_cudaILi128ELb1EEvPKfPfPiS2_iiff15topk_moe_config,comdat
.Lfunc_end7:
	.size	_Z13topk_moe_cudaILi128ELb1EEvPKfPfPiS2_iiff15topk_moe_config, .Lfunc_end7-_Z13topk_moe_cudaILi128ELb1EEvPKfPfPiS2_iiff15topk_moe_config
                                        ; -- End function
	.section	.AMDGPU.csdata,"",@progbits
; Kernel info:
; codeLenInByte = 5148
; NumSgprs: 22
; NumVgprs: 33
; ScratchSize: 0
; MemoryBound: 0
; FloatMode: 240
; IeeeMode: 1
; LDSByteSize: 0 bytes/workgroup (compile time only)
; SGPRBlocks: 2
; VGPRBlocks: 4
; NumSGPRsForWavesPerEU: 22
; NumVGPRsForWavesPerEU: 33
; Occupancy: 16
; WaveLimiterHint : 1
; COMPUTE_PGM_RSRC2:SCRATCH_EN: 0
; COMPUTE_PGM_RSRC2:USER_SGPR: 15
; COMPUTE_PGM_RSRC2:TRAP_HANDLER: 0
; COMPUTE_PGM_RSRC2:TGID_X_EN: 1
; COMPUTE_PGM_RSRC2:TGID_Y_EN: 0
; COMPUTE_PGM_RSRC2:TGID_Z_EN: 0
; COMPUTE_PGM_RSRC2:TIDIG_COMP_CNT: 1
	.section	.text._Z13topk_moe_cudaILi256ELb1EEvPKfPfPiS2_iiff15topk_moe_config,"axG",@progbits,_Z13topk_moe_cudaILi256ELb1EEvPKfPfPiS2_iiff15topk_moe_config,comdat
	.protected	_Z13topk_moe_cudaILi256ELb1EEvPKfPfPiS2_iiff15topk_moe_config ; -- Begin function _Z13topk_moe_cudaILi256ELb1EEvPKfPfPiS2_iiff15topk_moe_config
	.globl	_Z13topk_moe_cudaILi256ELb1EEvPKfPfPiS2_iiff15topk_moe_config
	.p2align	8
	.type	_Z13topk_moe_cudaILi256ELb1EEvPKfPfPiS2_iiff15topk_moe_config,@function
_Z13topk_moe_cudaILi256ELb1EEvPKfPfPiS2_iiff15topk_moe_config: ; @_Z13topk_moe_cudaILi256ELb1EEvPKfPfPiS2_iiff15topk_moe_config
; %bb.0:
	s_clause 0x1
	s_load_b32 s2, s[0:1], 0x44
	s_load_b128 s[16:19], s[0:1], 0x20
	v_bfe_u32 v1, v0, 10, 10
	s_waitcnt lgkmcnt(0)
	s_lshr_b32 s2, s2, 16
	s_delay_alu instid0(VALU_DEP_1) | instid1(SALU_CYCLE_1)
	v_mad_u64_u32 v[24:25], null, s15, s2, v[1:2]
	s_mov_b32 s2, exec_lo
	s_delay_alu instid0(VALU_DEP_1)
	v_cmpx_gt_i32_e64 s16, v24
	s_cbranch_execz .LBB8_51
; %bb.1:
	s_load_b256 s[8:15], s[0:1], 0x0
	v_lshlrev_b32_e32 v1, 8, v24
	v_dual_mov_b32 v3, 0 :: v_dual_and_b32 v28, 0x3ff, v0
	s_delay_alu instid0(VALU_DEP_2) | instskip(NEXT) | instid1(VALU_DEP_2)
	v_ashrrev_i32_e32 v2, 31, v1
	v_lshlrev_b32_e32 v27, 2, v28
	s_delay_alu instid0(VALU_DEP_2) | instskip(SKIP_1) | instid1(VALU_DEP_1)
	v_lshlrev_b64 v[25:26], 2, v[1:2]
	s_waitcnt lgkmcnt(0)
	v_add_co_u32 v0, vcc_lo, s8, v25
	s_delay_alu instid0(VALU_DEP_2) | instskip(NEXT) | instid1(VALU_DEP_2)
	v_add_co_ci_u32_e32 v2, vcc_lo, s9, v26, vcc_lo
	v_add_co_u32 v1, vcc_lo, v0, v27
	s_delay_alu instid0(VALU_DEP_2)
	v_add_co_ci_u32_e32 v2, vcc_lo, 0, v2, vcc_lo
	global_load_u16 v0, v3, s[0:1] offset:48
	s_clause 0x7
	global_load_b32 v8, v[1:2], off
	global_load_b32 v9, v[1:2], off offset:128
	global_load_b32 v10, v[1:2], off offset:256
	;; [unrolled: 1-line block ×7, first 2 shown]
	s_load_b32 s0, s[0:1], 0x30
	s_waitcnt lgkmcnt(0)
	s_bitcmp1_b32 s0, 16
	s_cselect_b32 s8, -1, 0
	s_delay_alu instid0(SALU_CYCLE_1)
	s_and_b32 vcc_lo, exec_lo, s8
	s_cbranch_vccnz .LBB8_4
; %bb.2:
	s_waitcnt vmcnt(8)
	v_and_b32_e32 v1, 1, v0
	s_delay_alu instid0(VALU_DEP_1)
	v_cmp_eq_u32_e32 vcc_lo, 0, v1
	s_cbranch_vccz .LBB8_5
; %bb.3:
	v_mbcnt_lo_u32_b32 v2, -1, 0
	s_waitcnt vmcnt(6)
	v_max3_f32 v1, v8, 0xff800000, v9
	s_delay_alu instid0(VALU_DEP_2) | instskip(SKIP_1) | instid1(VALU_DEP_2)
	v_xor_b32_e32 v3, 16, v2
	s_waitcnt vmcnt(4)
	v_max3_f32 v1, v1, v10, v11
	v_xor_b32_e32 v5, 8, v2
	v_xor_b32_e32 v6, 4, v2
	;; [unrolled: 1-line block ×3, first 2 shown]
	v_cmp_gt_i32_e32 vcc_lo, 32, v3
	s_waitcnt vmcnt(2)
	v_max3_f32 v1, v1, v12, v13
	v_xor_b32_e32 v16, 1, v2
	v_cndmask_b32_e32 v3, v2, v3, vcc_lo
	v_cmp_gt_i32_e32 vcc_lo, 32, v5
	s_waitcnt vmcnt(0)
	v_max3_f32 v1, v1, v14, v15
	v_cndmask_b32_e32 v5, v2, v5, vcc_lo
	v_cmp_gt_i32_e32 vcc_lo, 32, v6
	v_lshlrev_b32_e32 v3, 2, v3
	s_delay_alu instid0(VALU_DEP_3) | instskip(SKIP_4) | instid1(VALU_DEP_2)
	v_dual_cndmask_b32 v6, v2, v6 :: v_dual_lshlrev_b32 v5, 2, v5
	ds_bpermute_b32 v4, v3, v1
	v_cmp_gt_i32_e32 vcc_lo, 32, v7
	v_dual_cndmask_b32 v7, v2, v7 :: v_dual_lshlrev_b32 v6, 2, v6
	v_cmp_gt_i32_e32 vcc_lo, 32, v16
	v_dual_cndmask_b32 v2, v2, v16 :: v_dual_lshlrev_b32 v7, 2, v7
	s_delay_alu instid0(VALU_DEP_1) | instskip(SKIP_2) | instid1(VALU_DEP_1)
	v_lshlrev_b32_e32 v2, 2, v2
	s_waitcnt lgkmcnt(0)
	v_max_f32_e32 v4, v4, v4
	v_max_f32_e32 v1, v1, v4
	ds_bpermute_b32 v4, v5, v1
	s_waitcnt lgkmcnt(0)
	v_max_f32_e32 v4, v4, v4
	s_delay_alu instid0(VALU_DEP_1) | instskip(SKIP_3) | instid1(VALU_DEP_1)
	v_max_f32_e32 v1, v1, v4
	ds_bpermute_b32 v4, v6, v1
	s_waitcnt lgkmcnt(0)
	v_max_f32_e32 v4, v4, v4
	v_max_f32_e32 v1, v1, v4
	ds_bpermute_b32 v4, v7, v1
	s_waitcnt lgkmcnt(0)
	v_max_f32_e32 v4, v4, v4
	s_delay_alu instid0(VALU_DEP_1) | instskip(SKIP_3) | instid1(VALU_DEP_1)
	v_max_f32_e32 v1, v1, v4
	ds_bpermute_b32 v4, v2, v1
	s_waitcnt lgkmcnt(0)
	v_max_f32_e32 v4, v4, v4
	v_max_f32_e32 v1, v1, v4
	s_delay_alu instid0(VALU_DEP_1) | instskip(NEXT) | instid1(VALU_DEP_1)
	v_sub_f32_e32 v20, v13, v1
	v_mul_f32_e32 v32, 0x3fb8aa3b, v20
	s_delay_alu instid0(VALU_DEP_1) | instskip(SKIP_1) | instid1(VALU_DEP_2)
	v_rndne_f32_e32 v46, v32
	v_fma_f32 v45, 0x3fb8aa3b, v20, -v32
	v_sub_f32_e32 v32, v32, v46
	v_sub_f32_e32 v19, v12, v1
	;; [unrolled: 1-line block ×4, first 2 shown]
	v_cvt_i32_f32_e32 v46, v46
	s_delay_alu instid0(VALU_DEP_4) | instskip(NEXT) | instid1(VALU_DEP_4)
	v_dual_mul_f32 v31, 0x3fb8aa3b, v19 :: v_dual_sub_f32 v4, v8, v1
	v_mul_f32_e32 v23, 0x3fb8aa3b, v16
	s_delay_alu instid0(VALU_DEP_2) | instskip(NEXT) | instid1(VALU_DEP_3)
	v_rndne_f32_e32 v44, v31
	v_mul_f32_e32 v22, 0x3fb8aa3b, v4
	s_delay_alu instid0(VALU_DEP_3)
	v_fma_f32 v37, 0x3fb8aa3b, v16, -v23
	v_rndne_f32_e32 v38, v23
	v_cmp_ngt_f32_e32 vcc_lo, 0xc2ce8ed0, v4
	v_fma_f32 v43, 0x3fb8aa3b, v19, -v31
	v_fma_f32 v35, 0x3fb8aa3b, v4, -v22
	v_rndne_f32_e32 v36, v22
	v_mul_f32_e32 v29, 0x3fb8aa3b, v17
	v_dual_sub_f32 v18, v11, v1 :: v_dual_fmac_f32 v37, 0x32a5705f, v16
	s_delay_alu instid0(VALU_DEP_4) | instskip(NEXT) | instid1(VALU_DEP_4)
	v_fmac_f32_e32 v35, 0x32a5705f, v4
	v_sub_f32_e32 v22, v22, v36
	s_delay_alu instid0(VALU_DEP_4) | instskip(SKIP_3) | instid1(VALU_DEP_4)
	v_fma_f32 v39, 0x3fb8aa3b, v17, -v29
	v_cvt_i32_f32_e32 v36, v36
	v_mul_f32_e32 v30, 0x3fb8aa3b, v18
	v_rndne_f32_e32 v40, v29
	v_dual_add_f32 v22, v22, v35 :: v_dual_fmac_f32 v39, 0x32a5705f, v17
	v_fmac_f32_e32 v45, 0x32a5705f, v20
	s_delay_alu instid0(VALU_DEP_4) | instskip(SKIP_1) | instid1(VALU_DEP_4)
	v_fma_f32 v41, 0x3fb8aa3b, v18, -v30
	v_rndne_f32_e32 v42, v30
	v_exp_f32_e32 v22, v22
	s_delay_alu instid0(VALU_DEP_3) | instskip(NEXT) | instid1(VALU_DEP_3)
	v_dual_sub_f32 v23, v23, v38 :: v_dual_add_f32 v32, v32, v45
	v_fmac_f32_e32 v41, 0x32a5705f, v18
	s_delay_alu instid0(VALU_DEP_3) | instskip(SKIP_3) | instid1(VALU_DEP_4)
	v_dual_sub_f32 v30, v30, v42 :: v_dual_sub_f32 v29, v29, v40
	v_cvt_i32_f32_e32 v38, v38
	v_cvt_i32_f32_e32 v40, v40
	;; [unrolled: 1-line block ×3, first 2 shown]
	v_add_f32_e32 v30, v30, v41
	s_delay_alu instid0(TRANS32_DEP_1) | instskip(SKIP_3) | instid1(VALU_DEP_4)
	v_ldexp_f32 v22, v22, v36
	v_sub_f32_e32 v21, v14, v1
	v_sub_f32_e32 v1, v15, v1
	v_add_f32_e32 v29, v29, v39
	v_dual_add_f32 v23, v23, v37 :: v_dual_cndmask_b32 v22, 0, v22
	v_cmp_ngt_f32_e32 vcc_lo, 0xc2ce8ed0, v16
	s_delay_alu instid0(VALU_DEP_4) | instskip(NEXT) | instid1(VALU_DEP_4)
	v_mul_f32_e32 v34, 0x3fb8aa3b, v1
	v_exp_f32_e32 v29, v29
	s_delay_alu instid0(VALU_DEP_3)
	v_exp_f32_e32 v23, v23
	v_mul_f32_e32 v33, 0x3fb8aa3b, v21
	v_exp_f32_e32 v30, v30
	v_fma_f32 v49, 0x3fb8aa3b, v1, -v34
	v_rndne_f32_e32 v50, v34
	v_exp_f32_e32 v32, v32
	v_rndne_f32_e32 v48, v33
	v_fma_f32 v47, 0x3fb8aa3b, v21, -v33
	v_ldexp_f32 v29, v29, v40
	s_delay_alu instid0(TRANS32_DEP_3) | instskip(SKIP_3) | instid1(VALU_DEP_4)
	v_ldexp_f32 v23, v23, v38
	v_dual_sub_f32 v34, v34, v50 :: v_dual_fmac_f32 v49, 0x32a5705f, v1
	v_fmac_f32_e32 v43, 0x32a5705f, v19
	v_ldexp_f32 v30, v30, v42
	v_cndmask_b32_e32 v23, 0, v23, vcc_lo
	v_cmp_ngt_f32_e32 vcc_lo, 0xc2ce8ed0, v17
	v_add_f32_e32 v34, v34, v49
	v_ldexp_f32 v32, v32, v46
	v_cvt_i32_f32_e32 v35, v48
	v_cvt_i32_f32_e32 v37, v50
	v_cndmask_b32_e32 v29, 0, v29, vcc_lo
	v_cmp_nlt_f32_e32 vcc_lo, 0x42b17218, v4
	v_sub_f32_e32 v31, v31, v44
	v_cvt_i32_f32_e32 v44, v44
	v_exp_f32_e32 v34, v34
	s_delay_alu instid0(VALU_DEP_2) | instskip(SKIP_2) | instid1(VALU_DEP_3)
	v_dual_cndmask_b32 v4, 0x7f800000, v22 :: v_dual_add_f32 v31, v31, v43
	v_cmp_nlt_f32_e32 vcc_lo, 0x42b17218, v16
	v_sub_f32_e32 v33, v33, v48
	v_exp_f32_e32 v31, v31
	v_cndmask_b32_e32 v22, 0x7f800000, v23, vcc_lo
	v_cmp_ngt_f32_e32 vcc_lo, 0xc2ce8ed0, v18
	s_delay_alu instid0(TRANS32_DEP_2) | instskip(SKIP_3) | instid1(TRANS32_DEP_1)
	v_ldexp_f32 v34, v34, v37
	v_cndmask_b32_e32 v16, 0, v30, vcc_lo
	v_cmp_nlt_f32_e32 vcc_lo, 0x42b17218, v17
	v_add_f32_e32 v17, v4, v22
	v_ldexp_f32 v31, v31, v44
	v_cndmask_b32_e32 v23, 0x7f800000, v29, vcc_lo
	v_cmp_ngt_f32_e32 vcc_lo, 0xc2ce8ed0, v19
	s_delay_alu instid0(VALU_DEP_3)
	v_cndmask_b32_e32 v29, 0, v31, vcc_lo
	v_cmp_nlt_f32_e32 vcc_lo, 0x42b17218, v18
	v_cndmask_b32_e32 v30, 0x7f800000, v16, vcc_lo
	v_add_f32_e32 v16, v23, v17
	v_fmac_f32_e32 v47, 0x32a5705f, v21
	v_cmp_ngt_f32_e32 vcc_lo, 0xc2ce8ed0, v20
	s_delay_alu instid0(VALU_DEP_2) | instskip(SKIP_2) | instid1(VALU_DEP_3)
	v_dual_add_f32 v16, v30, v16 :: v_dual_add_f32 v33, v33, v47
	v_cndmask_b32_e32 v17, 0, v32, vcc_lo
	v_cmp_nlt_f32_e32 vcc_lo, 0x42b17218, v19
	v_exp_f32_e32 v33, v33
	v_cndmask_b32_e32 v29, 0x7f800000, v29, vcc_lo
	v_cmp_ngt_f32_e32 vcc_lo, 0xc2ce8ed0, v21
	s_delay_alu instid0(VALU_DEP_2) | instskip(SKIP_2) | instid1(VALU_DEP_1)
	v_add_f32_e32 v16, v29, v16
	s_waitcnt_depctr 0xfff
	v_ldexp_f32 v33, v33, v35
	v_cndmask_b32_e32 v18, 0, v33, vcc_lo
	v_cmp_nlt_f32_e32 vcc_lo, 0x42b17218, v20
	v_cndmask_b32_e32 v31, 0x7f800000, v17, vcc_lo
	v_cmp_ngt_f32_e32 vcc_lo, 0xc2ce8ed0, v1
	s_delay_alu instid0(VALU_DEP_2) | instskip(SKIP_3) | instid1(VALU_DEP_2)
	v_dual_add_f32 v16, v31, v16 :: v_dual_cndmask_b32 v17, 0, v34
	v_cmp_nlt_f32_e32 vcc_lo, 0x42b17218, v21
	v_cndmask_b32_e32 v32, 0x7f800000, v18, vcc_lo
	v_cmp_nlt_f32_e32 vcc_lo, 0x42b17218, v1
	v_dual_add_f32 v16, v32, v16 :: v_dual_cndmask_b32 v1, 0x7f800000, v17
	s_delay_alu instid0(VALU_DEP_1)
	v_add_f32_e32 v16, v1, v16
	ds_bpermute_b32 v3, v3, v16
	s_waitcnt lgkmcnt(0)
	v_add_f32_e32 v3, v16, v3
	ds_bpermute_b32 v5, v5, v3
	s_waitcnt lgkmcnt(0)
	v_add_f32_e32 v3, v3, v5
	ds_bpermute_b32 v5, v6, v3
	s_waitcnt lgkmcnt(0)
	v_add_f32_e32 v3, v3, v5
	ds_bpermute_b32 v5, v7, v3
	s_waitcnt lgkmcnt(0)
	v_add_f32_e32 v3, v3, v5
	ds_bpermute_b32 v2, v2, v3
	s_waitcnt lgkmcnt(0)
	v_add_f32_e32 v2, v3, v2
	s_delay_alu instid0(VALU_DEP_1) | instskip(SKIP_1) | instid1(VALU_DEP_2)
	v_div_scale_f32 v3, null, v2, v2, 1.0
	v_div_scale_f32 v7, vcc_lo, 1.0, v2, 1.0
	v_rcp_f32_e32 v5, v3
	s_waitcnt_depctr 0xfff
	v_fma_f32 v6, -v3, v5, 1.0
	s_delay_alu instid0(VALU_DEP_1) | instskip(NEXT) | instid1(VALU_DEP_1)
	v_fmac_f32_e32 v5, v6, v5
	v_mul_f32_e32 v6, v7, v5
	s_delay_alu instid0(VALU_DEP_1) | instskip(NEXT) | instid1(VALU_DEP_1)
	v_fma_f32 v16, -v3, v6, v7
	v_fmac_f32_e32 v6, v16, v5
	s_delay_alu instid0(VALU_DEP_1) | instskip(NEXT) | instid1(VALU_DEP_1)
	v_fma_f32 v3, -v3, v6, v7
	v_div_fmas_f32 v3, v3, v5, v6
	s_delay_alu instid0(VALU_DEP_1) | instskip(NEXT) | instid1(VALU_DEP_1)
	v_div_fixup_f32 v2, v3, v2, 1.0
	v_mul_f32_e32 v16, v4, v2
	v_mul_f32_e32 v17, v22, v2
	;; [unrolled: 1-line block ×8, first 2 shown]
	s_cbranch_execz .LBB8_6
	s_branch .LBB8_7
.LBB8_4:
	s_waitcnt vmcnt(7)
	v_mov_b32_e32 v16, v8
	s_branch .LBB8_8
.LBB8_5:
                                        ; implicit-def: $vgpr16
.LBB8_6:
	s_waitcnt vmcnt(6)
	v_dual_mul_f32 v1, 0xbfb8aa3b, v8 :: v_dual_mul_f32 v2, 0xbfb8aa3b, v9
	v_cmp_nlt_f32_e32 vcc_lo, 0x42ce8ed0, v8
	s_waitcnt vmcnt(4)
	v_cmp_nlt_f32_e64 s2, 0x42ce8ed0, v11
	s_delay_alu instid0(VALU_DEP_3) | instskip(SKIP_3) | instid1(VALU_DEP_3)
	v_rndne_f32_e32 v4, v1
	v_rndne_f32_e32 v6, v2
	v_fma_f32 v7, 0xbfb8aa3b, v9, -v2
	v_fma_f32 v5, 0xbfb8aa3b, v8, -v1
	v_dual_sub_f32 v1, v1, v4 :: v_dual_sub_f32 v2, v2, v6
	s_delay_alu instid0(VALU_DEP_3) | instskip(SKIP_3) | instid1(VALU_DEP_4)
	v_fmac_f32_e32 v7, 0xb2a5705f, v9
	v_mul_f32_e32 v3, 0xbfb8aa3b, v10
	v_cvt_i32_f32_e32 v6, v6
	v_cvt_i32_f32_e32 v4, v4
	v_add_f32_e32 v2, v2, v7
	s_delay_alu instid0(VALU_DEP_4) | instskip(SKIP_1) | instid1(VALU_DEP_3)
	v_rndne_f32_e32 v16, v3
	v_fma_f32 v17, 0xbfb8aa3b, v10, -v3
	v_exp_f32_e32 v2, v2
	s_delay_alu instid0(VALU_DEP_2) | instskip(SKIP_3) | instid1(VALU_DEP_1)
	v_cvt_i32_f32_e32 v7, v16
	s_waitcnt_depctr 0xfff
	v_ldexp_f32 v2, v2, v6
	v_fmac_f32_e32 v5, 0xb2a5705f, v8
	v_add_f32_e32 v1, v1, v5
	v_mul_f32_e32 v5, 0xbfb8aa3b, v11
	s_delay_alu instid0(VALU_DEP_2) | instskip(SKIP_3) | instid1(VALU_DEP_2)
	v_exp_f32_e32 v1, v1
	s_waitcnt_depctr 0xfff
	v_ldexp_f32 v1, v1, v4
	v_fma_f32 v4, 0xbfb8aa3b, v11, -v5
	v_cndmask_b32_e32 v1, 0, v1, vcc_lo
	v_cmp_nlt_f32_e32 vcc_lo, 0x42ce8ed0, v9
	s_delay_alu instid0(VALU_DEP_3) | instskip(SKIP_3) | instid1(VALU_DEP_2)
	v_fmac_f32_e32 v4, 0xb2a5705f, v11
	v_dual_cndmask_b32 v2, 0, v2 :: v_dual_sub_f32 v3, v3, v16
	v_rndne_f32_e32 v16, v5
	v_cmp_nlt_f32_e32 vcc_lo, 0x42ce8ed0, v10
	v_sub_f32_e32 v5, v5, v16
	v_fmac_f32_e32 v17, 0xb2a5705f, v10
	v_cvt_i32_f32_e32 v16, v16
	s_delay_alu instid0(VALU_DEP_2) | instskip(NEXT) | instid1(VALU_DEP_1)
	v_dual_add_f32 v4, v5, v4 :: v_dual_add_f32 v3, v3, v17
	v_exp_f32_e32 v4, v4
	s_delay_alu instid0(VALU_DEP_1) | instskip(SKIP_3) | instid1(VALU_DEP_2)
	v_exp_f32_e32 v3, v3
	s_waitcnt_depctr 0xfff
	v_ldexp_f32 v4, v4, v16
	v_ldexp_f32 v3, v3, v7
	v_cndmask_b32_e64 v4, 0, v4, s2
	s_delay_alu instid0(VALU_DEP_2) | instskip(SKIP_4) | instid1(VALU_DEP_2)
	v_cndmask_b32_e32 v3, 0, v3, vcc_lo
	v_cmp_ngt_f32_e32 vcc_lo, 0xc2b17218, v8
	v_cmp_ngt_f32_e64 s2, 0xc2b17218, v11
	s_waitcnt vmcnt(3)
	v_mul_f32_e32 v11, 0xbfb8aa3b, v12
	v_cndmask_b32_e64 v4, 0x7f800000, v4, s2
	v_cndmask_b32_e32 v1, 0x7f800000, v1, vcc_lo
	v_cmp_ngt_f32_e32 vcc_lo, 0xc2b17218, v9
	s_delay_alu instid0(VALU_DEP_2) | instskip(SKIP_2) | instid1(VALU_DEP_3)
	v_dual_add_f32 v4, 1.0, v4 :: v_dual_add_f32 v1, 1.0, v1
	v_cndmask_b32_e32 v2, 0x7f800000, v2, vcc_lo
	v_cmp_ngt_f32_e32 vcc_lo, 0xc2b17218, v10
	v_div_scale_f32 v6, null, v1, v1, 1.0
	s_delay_alu instid0(VALU_DEP_3) | instskip(NEXT) | instid1(VALU_DEP_2)
	v_add_f32_e32 v2, 1.0, v2
	v_rcp_f32_e32 v5, v6
	s_delay_alu instid0(VALU_DEP_1) | instskip(SKIP_1) | instid1(VALU_DEP_2)
	v_div_scale_f32 v7, null, v2, v2, 1.0
	v_div_scale_f32 v18, s0, 1.0, v2, 1.0
	v_rcp_f32_e32 v9, v7
	s_waitcnt_depctr 0xfff
	v_fma_f32 v19, -v6, v5, 1.0
	s_delay_alu instid0(VALU_DEP_1) | instskip(SKIP_3) | instid1(VALU_DEP_3)
	v_fmac_f32_e32 v5, v19, v5
	v_cndmask_b32_e32 v3, 0x7f800000, v3, vcc_lo
	v_fma_f32 v20, -v7, v9, 1.0
	v_div_scale_f32 v17, vcc_lo, 1.0, v1, 1.0
	v_add_f32_e32 v3, 1.0, v3
	s_delay_alu instid0(VALU_DEP_3) | instskip(NEXT) | instid1(VALU_DEP_3)
	v_fmac_f32_e32 v9, v20, v9
	v_mul_f32_e32 v16, v17, v5
	s_delay_alu instid0(VALU_DEP_3) | instskip(SKIP_1) | instid1(VALU_DEP_4)
	v_div_scale_f32 v8, null, v3, v3, 1.0
	v_div_scale_f32 v22, s1, 1.0, v3, 1.0
	v_mul_f32_e32 v19, v18, v9
	s_delay_alu instid0(VALU_DEP_3) | instskip(NEXT) | instid1(VALU_DEP_1)
	v_rcp_f32_e32 v10, v8
	v_fma_f32 v23, -v7, v19, v18
	s_delay_alu instid0(VALU_DEP_1) | instskip(SKIP_3) | instid1(VALU_DEP_2)
	v_fmac_f32_e32 v19, v23, v9
	s_waitcnt_depctr 0xfff
	v_fma_f32 v21, -v8, v10, 1.0
	v_fma_f32 v7, -v7, v19, v18
	v_fmac_f32_e32 v10, v21, v10
	v_fma_f32 v21, -v6, v16, v17
	s_delay_alu instid0(VALU_DEP_2) | instskip(NEXT) | instid1(VALU_DEP_2)
	v_mul_f32_e32 v20, v22, v10
	v_fmac_f32_e32 v16, v21, v5
	v_div_scale_f32 v21, null, v4, v4, 1.0
	s_delay_alu instid0(VALU_DEP_3) | instskip(NEXT) | instid1(VALU_DEP_3)
	v_fma_f32 v29, -v8, v20, v22
	v_fma_f32 v6, -v6, v16, v17
	v_fma_f32 v17, 0xbfb8aa3b, v12, -v11
	s_delay_alu instid0(VALU_DEP_3) | instskip(NEXT) | instid1(VALU_DEP_3)
	v_fmac_f32_e32 v20, v29, v10
	v_div_fmas_f32 v5, v6, v5, v16
	s_mov_b32 vcc_lo, s0
	s_delay_alu instid0(VALU_DEP_3)
	v_fmac_f32_e32 v17, 0xb2a5705f, v12
	v_div_fmas_f32 v6, v7, v9, v19
	v_fma_f32 v8, -v8, v20, v22
	v_rndne_f32_e32 v22, v11
	s_mov_b32 vcc_lo, s1
	v_rcp_f32_e32 v9, v21
	s_waitcnt vmcnt(0)
	v_mul_f32_e32 v19, 0xbfb8aa3b, v15
	v_div_fmas_f32 v8, v8, v10, v20
	v_dual_sub_f32 v7, v11, v22 :: v_dual_mul_f32 v10, 0xbfb8aa3b, v13
	v_cmp_nlt_f32_e32 vcc_lo, 0x42ce8ed0, v12
	s_delay_alu instid0(VALU_DEP_3) | instskip(NEXT) | instid1(VALU_DEP_3)
	v_div_fixup_f32 v18, v8, v3, 1.0
	v_add_f32_e32 v7, v7, v17
	v_div_fixup_f32 v17, v6, v2, 1.0
	v_rndne_f32_e32 v2, v10
	v_fma_f32 v3, 0xbfb8aa3b, v13, -v10
	v_fma_f32 v6, -v21, v9, 1.0
	s_delay_alu instid0(VALU_DEP_3)
	v_sub_f32_e32 v8, v10, v2
	v_div_fixup_f32 v16, v5, v1, 1.0
	v_mul_f32_e32 v5, 0xbfb8aa3b, v14
	v_exp_f32_e32 v1, v7
	v_fmac_f32_e32 v3, 0xb2a5705f, v13
	v_cvt_i32_f32_e32 v7, v22
	v_cvt_i32_f32_e32 v2, v2
	v_rndne_f32_e32 v10, v5
	v_fma_f32 v11, 0xbfb8aa3b, v14, -v5
	v_add_f32_e32 v3, v8, v3
	v_fma_f32 v8, 0xbfb8aa3b, v15, -v19
	v_fmac_f32_e32 v9, v6, v9
	v_sub_f32_e32 v5, v5, v10
	v_fmac_f32_e32 v11, 0xb2a5705f, v14
	v_ldexp_f32 v1, v1, v7
	v_exp_f32_e32 v3, v3
	v_rndne_f32_e32 v7, v19
	v_fmac_f32_e32 v8, 0xb2a5705f, v15
	v_add_f32_e32 v5, v5, v11
	v_cndmask_b32_e32 v1, 0, v1, vcc_lo
	v_cmp_ngt_f32_e32 vcc_lo, 0xc2b17218, v12
	v_sub_f32_e32 v11, v19, v7
	v_cvt_i32_f32_e32 v6, v10
	v_exp_f32_e32 v5, v5
	v_cndmask_b32_e32 v1, 0x7f800000, v1, vcc_lo
	v_ldexp_f32 v2, v3, v2
	v_cmp_nlt_f32_e32 vcc_lo, 0x42ce8ed0, v13
	s_delay_alu instid0(VALU_DEP_3) | instskip(NEXT) | instid1(VALU_DEP_3)
	v_dual_add_f32 v8, v11, v8 :: v_dual_add_f32 v1, 1.0, v1
	v_cndmask_b32_e32 v2, 0, v2, vcc_lo
	s_waitcnt_depctr 0xfff
	v_ldexp_f32 v5, v5, v6
	v_cmp_nlt_f32_e32 vcc_lo, 0x42ce8ed0, v14
	v_exp_f32_e32 v3, v8
	v_cvt_i32_f32_e32 v6, v7
	v_div_scale_f32 v8, null, v1, v1, 1.0
	v_cndmask_b32_e32 v5, 0, v5, vcc_lo
	v_cmp_ngt_f32_e32 vcc_lo, 0xc2b17218, v13
	v_cndmask_b32_e32 v2, 0x7f800000, v2, vcc_lo
	v_cmp_ngt_f32_e32 vcc_lo, 0xc2b17218, v14
	s_delay_alu instid0(TRANS32_DEP_1) | instskip(SKIP_1) | instid1(VALU_DEP_3)
	v_ldexp_f32 v3, v3, v6
	v_rcp_f32_e32 v6, v8
	v_dual_add_f32 v2, 1.0, v2 :: v_dual_cndmask_b32 v5, 0x7f800000, v5
	v_cmp_nlt_f32_e32 vcc_lo, 0x42ce8ed0, v15
	s_delay_alu instid0(VALU_DEP_2) | instskip(SKIP_3) | instid1(VALU_DEP_4)
	v_div_scale_f32 v7, null, v2, v2, 1.0
	v_cndmask_b32_e32 v3, 0, v3, vcc_lo
	v_cmp_ngt_f32_e32 vcc_lo, 0xc2b17218, v15
	v_add_f32_e32 v5, 1.0, v5
	v_rcp_f32_e32 v12, v7
	s_delay_alu instid0(TRANS32_DEP_2) | instskip(SKIP_1) | instid1(VALU_DEP_3)
	v_fma_f32 v13, -v8, v6, 1.0
	v_cndmask_b32_e32 v3, 0x7f800000, v3, vcc_lo
	v_div_scale_f32 v10, null, v5, v5, 1.0
	v_div_scale_f32 v11, vcc_lo, 1.0, v4, 1.0
	s_delay_alu instid0(VALU_DEP_3) | instskip(NEXT) | instid1(VALU_DEP_3)
	v_add_f32_e32 v3, 1.0, v3
	v_rcp_f32_e32 v14, v10
	s_delay_alu instid0(TRANS32_DEP_2) | instskip(NEXT) | instid1(VALU_DEP_3)
	v_fma_f32 v20, -v7, v12, 1.0
	v_dual_mul_f32 v15, v11, v9 :: v_dual_fmac_f32 v6, v13, v6
	s_delay_alu instid0(VALU_DEP_3) | instskip(SKIP_1) | instid1(VALU_DEP_3)
	v_div_scale_f32 v19, null, v3, v3, 1.0
	v_div_scale_f32 v13, s0, 1.0, v1, 1.0
	v_fma_f32 v23, -v21, v15, v11
	s_delay_alu instid0(VALU_DEP_3) | instskip(NEXT) | instid1(TRANS32_DEP_2)
	v_rcp_f32_e32 v22, v19
	v_fma_f32 v29, -v10, v14, 1.0
	v_fmac_f32_e32 v12, v20, v12
	v_div_scale_f32 v20, s1, 1.0, v2, 1.0
	v_mul_f32_e32 v30, v13, v6
	s_delay_alu instid0(VALU_DEP_4) | instskip(SKIP_2) | instid1(TRANS32_DEP_1)
	v_fmac_f32_e32 v14, v29, v14
	v_div_scale_f32 v29, s2, 1.0, v5, 1.0
	v_fmac_f32_e32 v15, v23, v9
	v_fma_f32 v31, -v19, v22, 1.0
	v_mul_f32_e32 v32, v20, v12
	v_fma_f32 v23, -v8, v30, v13
	v_mul_f32_e32 v33, v29, v14
	v_fma_f32 v11, -v21, v15, v11
	v_fmac_f32_e32 v22, v31, v22
	v_div_scale_f32 v31, s3, 1.0, v3, 1.0
	v_fma_f32 v21, -v7, v32, v20
	v_fmac_f32_e32 v30, v23, v6
	v_fma_f32 v23, -v10, v33, v29
	s_delay_alu instid0(VALU_DEP_4)
	v_mul_f32_e32 v34, v31, v22
	v_div_fmas_f32 v9, v11, v9, v15
	v_fmac_f32_e32 v32, v21, v12
	v_fma_f32 v8, -v8, v30, v13
	v_fmac_f32_e32 v33, v23, v14
	v_fma_f32 v11, -v19, v34, v31
	s_mov_b32 vcc_lo, s0
	v_fma_f32 v7, -v7, v32, v20
	v_div_fmas_f32 v6, v8, v6, v30
	v_fma_f32 v8, -v10, v33, v29
	v_fmac_f32_e32 v34, v11, v22
	s_mov_b32 vcc_lo, s1
	v_div_fmas_f32 v7, v7, v12, v32
	s_mov_b32 vcc_lo, s2
	s_delay_alu instid0(VALU_DEP_2)
	v_fma_f32 v10, -v19, v34, v31
	v_div_fmas_f32 v8, v8, v14, v33
	s_mov_b32 vcc_lo, s3
	v_div_fixup_f32 v19, v9, v4, 1.0
	v_div_fixup_f32 v20, v6, v1, 1.0
	v_div_fmas_f32 v10, v10, v22, v34
	v_div_fixup_f32 v21, v7, v2, 1.0
	v_div_fixup_f32 v22, v8, v5, 1.0
	s_delay_alu instid0(VALU_DEP_3)
	v_div_fixup_f32 v23, v10, v3, 1.0
.LBB8_7:
	s_waitcnt vmcnt(0)
	v_dual_mov_b32 v8, v16 :: v_dual_mov_b32 v9, v17
	v_dual_mov_b32 v10, v18 :: v_dual_mov_b32 v11, v19
	;; [unrolled: 1-line block ×4, first 2 shown]
.LBB8_8:
	v_lshrrev_b16 v0, 8, v0
	s_cmp_gt_i32 s17, 0
	s_delay_alu instid0(VALU_DEP_1)
	v_readfirstlane_b32 s0, v0
	s_cbranch_scc1 .LBB8_10
; %bb.9:
	s_delay_alu instid0(VALU_DEP_1)
	s_bitcmp1_b32 s0, 0
	s_mov_b32 s1, 0
	s_mov_b32 s2, 0
	s_cselect_b32 s4, -1, 0
	s_branch .LBB8_11
.LBB8_10:
	s_mov_b32 s1, -1
                                        ; implicit-def: $sgpr2
                                        ; implicit-def: $sgpr4
.LBB8_11:
	v_dual_mov_b32 v6, s2 :: v_dual_add_nc_u32 v23, 32, v28
	v_dual_mov_b32 v7, s2 :: v_dual_add_nc_u32 v22, 64, v28
	;; [unrolled: 1-line block ×7, first 2 shown]
	v_mbcnt_lo_u32_b32 v29, -1, 0
	v_dual_mov_b32 v1, s2 :: v_dual_mov_b32 v30, s2
	s_and_not1_b32 vcc_lo, exec_lo, s1
	s_cbranch_vccnz .LBB8_38
; %bb.12:
	s_clause 0x7
	global_load_b32 v7, v27, s[14:15]
	global_load_b32 v36, v27, s[14:15] offset:128
	global_load_b32 v37, v27, s[14:15] offset:256
	;; [unrolled: 1-line block ×7, first 2 shown]
	v_cmp_o_f32_e32 vcc_lo, v16, v16
	v_xor_b32_e32 v1, 16, v29
	v_mov_b32_e32 v30, 0
	v_xor_b32_e32 v2, 8, v29
	v_xor_b32_e32 v3, 4, v29
	v_cndmask_b32_e32 v16, 0xff7fffff, v8, vcc_lo
	s_waitcnt vmcnt(14)
	v_cmp_o_f32_e32 vcc_lo, v9, v9
	v_xor_b32_e32 v4, 2, v29
	v_xor_b32_e32 v5, 1, v29
	v_mov_b32_e32 v0, 0
	s_bitcmp1_b32 s0, 0
	v_cndmask_b32_e32 v31, 0xff7fffff, v9, vcc_lo
	s_waitcnt vmcnt(13)
	v_cmp_o_f32_e32 vcc_lo, v10, v10
	s_mov_b32 s5, 0
	s_cselect_b32 s4, -1, 0
	v_cndmask_b32_e32 v10, 0xff7fffff, v10, vcc_lo
	s_waitcnt vmcnt(12)
	v_cmp_o_f32_e32 vcc_lo, v11, v11
	v_cndmask_b32_e32 v11, 0xff7fffff, v11, vcc_lo
	s_waitcnt vmcnt(11)
	v_cmp_o_f32_e32 vcc_lo, v12, v12
	;; [unrolled: 3-line block ×5, first 2 shown]
	v_cndmask_b32_e32 v15, 0xff7fffff, v15, vcc_lo
	v_add_co_u32 v8, vcc_lo, s12, v25
	v_add_co_ci_u32_e32 v9, vcc_lo, s13, v26, vcc_lo
	v_cmp_gt_i32_e32 vcc_lo, 32, v1
	v_dual_cndmask_b32 v25, v29, v1 :: v_dual_mov_b32 v6, v30
	v_cmp_gt_i32_e32 vcc_lo, 32, v2
	v_mov_b32_e32 v1, v30
	s_delay_alu instid0(VALU_DEP_3)
	v_dual_cndmask_b32 v26, v29, v2 :: v_dual_lshlrev_b32 v25, 2, v25
	v_cmp_gt_i32_e32 vcc_lo, 32, v3
	v_mov_b32_e32 v2, v30
	v_cndmask_b32_e32 v32, v29, v3, vcc_lo
	v_cmp_gt_i32_e32 vcc_lo, 32, v4
	v_mov_b32_e32 v3, v30
	v_cndmask_b32_e32 v33, v29, v4, vcc_lo
	v_cmp_gt_i32_e32 vcc_lo, 32, v5
	s_delay_alu instid0(VALU_DEP_2) | instskip(SKIP_3) | instid1(VALU_DEP_1)
	v_dual_mov_b32 v4, v30 :: v_dual_lshlrev_b32 v33, 2, v33
	v_lshlrev_b32_e32 v26, 2, v26
	v_dual_cndmask_b32 v34, v29, v5 :: v_dual_mov_b32 v5, v30
	s_waitcnt vmcnt(7)
	v_dual_add_f32 v35, v16, v7 :: v_dual_lshlrev_b32 v34, 2, v34
	s_waitcnt vmcnt(6)
	v_dual_add_f32 v36, v31, v36 :: v_dual_mov_b32 v7, v30
	s_waitcnt vmcnt(5)
	v_dual_add_f32 v37, v10, v37 :: v_dual_lshlrev_b32 v32, 2, v32
	s_waitcnt vmcnt(3)
	v_dual_add_f32 v39, v12, v39 :: v_dual_add_f32 v38, v11, v38
	s_waitcnt vmcnt(1)
	v_dual_add_f32 v40, v13, v40 :: v_dual_add_f32 v41, v14, v41
	s_waitcnt vmcnt(0)
	v_add_f32_e32 v42, v15, v42
	s_branch .LBB8_14
.LBB8_13:                               ;   in Loop: Header=BB8_14 Depth=1
	s_or_b32 exec_lo, exec_lo, s0
	s_and_b32 s1, s5, 31
	s_waitcnt lgkmcnt(0)
	v_dual_mov_b32 v51, v7 :: v_dual_mov_b32 v50, v6
	v_dual_mov_b32 v45, v1 :: v_dual_mov_b32 v44, v0
	v_cmp_eq_u32_e32 vcc_lo, s1, v28
	s_lshr_b32 s0, s5, 5
	v_dual_mov_b32 v49, v5 :: v_dual_mov_b32 v48, v4
	s_mov_b32 m0, s0
	v_dual_mov_b32 v47, v3 :: v_dual_mov_b32 v46, v2
	v_movreld_b32_e32 v44, v43
	v_dual_cndmask_b32 v0, v0, v44 :: v_dual_cndmask_b32 v1, v1, v45
	s_delay_alu instid0(VALU_DEP_3)
	v_dual_cndmask_b32 v2, v2, v46 :: v_dual_cndmask_b32 v3, v3, v47
	v_dual_cndmask_b32 v4, v4, v48 :: v_dual_cndmask_b32 v5, v5, v49
	;; [unrolled: 1-line block ×3, first 2 shown]
	v_add_co_u32 v8, vcc_lo, v8, 4
	v_add_co_ci_u32_e32 v9, vcc_lo, 0, v9, vcc_lo
	s_add_i32 s5, s5, 1
	s_delay_alu instid0(SALU_CYCLE_1)
	s_cmp_eq_u32 s17, s5
	s_cbranch_scc1 .LBB8_38
.LBB8_14:                               ; =>This Inner Loop Header: Depth=1
	v_cmp_gt_f32_e32 vcc_lo, v36, v35
	v_dual_cndmask_b32 v43, v16, v31 :: v_dual_cndmask_b32 v44, v35, v36
	v_cndmask_b32_e32 v45, v28, v23, vcc_lo
	s_delay_alu instid0(VALU_DEP_2) | instskip(NEXT) | instid1(VALU_DEP_1)
	v_cmp_gt_f32_e64 s0, v37, v44
	v_cndmask_b32_e64 v44, v44, v37, s0
	s_delay_alu instid0(VALU_DEP_4) | instskip(NEXT) | instid1(VALU_DEP_4)
	v_cndmask_b32_e64 v43, v43, v10, s0
	v_cndmask_b32_e64 v45, v45, v22, s0
	s_delay_alu instid0(VALU_DEP_3) | instskip(NEXT) | instid1(VALU_DEP_1)
	v_cmp_gt_f32_e64 s1, v38, v44
	v_cndmask_b32_e64 v44, v44, v38, s1
	s_delay_alu instid0(VALU_DEP_4) | instskip(NEXT) | instid1(VALU_DEP_4)
	v_cndmask_b32_e64 v43, v43, v11, s1
	v_cndmask_b32_e64 v45, v45, v21, s1
	s_delay_alu instid0(VALU_DEP_3) | instskip(NEXT) | instid1(VALU_DEP_1)
	v_cmp_gt_f32_e64 s2, v39, v44
	v_cndmask_b32_e64 v44, v44, v39, s2
	s_delay_alu instid0(VALU_DEP_4) | instskip(NEXT) | instid1(VALU_DEP_4)
	v_cndmask_b32_e64 v43, v43, v12, s2
	v_cndmask_b32_e64 v45, v45, v20, s2
	s_mov_b32 s2, exec_lo
	s_delay_alu instid0(VALU_DEP_3) | instskip(NEXT) | instid1(VALU_DEP_1)
	v_cmp_gt_f32_e64 s3, v40, v44
	v_cndmask_b32_e64 v44, v44, v40, s3
	v_cndmask_b32_e64 v43, v43, v13, s3
	;; [unrolled: 1-line block ×3, first 2 shown]
	s_delay_alu instid0(VALU_DEP_3) | instskip(NEXT) | instid1(VALU_DEP_3)
	v_cmp_gt_f32_e32 vcc_lo, v41, v44
	v_dual_cndmask_b32 v43, v43, v14 :: v_dual_cndmask_b32 v44, v44, v41
	s_delay_alu instid0(VALU_DEP_1) | instskip(NEXT) | instid1(VALU_DEP_1)
	v_cmp_gt_f32_e64 s0, v42, v44
	v_cndmask_b32_e64 v45, v44, v42, s0
	v_cndmask_b32_e32 v44, v46, v18, vcc_lo
	s_delay_alu instid0(VALU_DEP_4)
	v_cndmask_b32_e64 v43, v43, v15, s0
	ds_bpermute_b32 v46, v25, v45
	v_cndmask_b32_e64 v44, v44, v17, s0
	ds_bpermute_b32 v48, v25, v43
	ds_bpermute_b32 v47, v25, v44
	s_waitcnt lgkmcnt(2)
	v_cmp_lt_f32_e64 s1, v45, v46
	v_cmpx_nlt_f32_e32 v45, v46
	s_cbranch_execz .LBB8_16
; %bb.15:                               ;   in Loop: Header=BB8_14 Depth=1
	v_cmp_eq_f32_e32 vcc_lo, v45, v46
	s_waitcnt lgkmcnt(0)
	v_cmp_lt_i32_e64 s0, v47, v44
	s_and_not1_b32 s1, s1, exec_lo
	s_delay_alu instid0(VALU_DEP_1) | instskip(NEXT) | instid1(SALU_CYCLE_1)
	s_and_b32 s0, vcc_lo, s0
	s_and_b32 s0, s0, exec_lo
	s_delay_alu instid0(SALU_CYCLE_1)
	s_or_b32 s1, s1, s0
.LBB8_16:                               ;   in Loop: Header=BB8_14 Depth=1
	s_or_b32 exec_lo, exec_lo, s2
	s_delay_alu instid0(VALU_DEP_2)
	s_and_saveexec_b32 s0, s1
	s_cbranch_execz .LBB8_18
; %bb.17:                               ;   in Loop: Header=BB8_14 Depth=1
	s_waitcnt lgkmcnt(0)
	v_dual_mov_b32 v45, v46 :: v_dual_mov_b32 v44, v47
	v_mov_b32_e32 v43, v48
.LBB8_18:                               ;   in Loop: Header=BB8_14 Depth=1
	s_or_b32 exec_lo, exec_lo, s0
	s_waitcnt lgkmcnt(1)
	ds_bpermute_b32 v48, v26, v45
	s_waitcnt lgkmcnt(1)
	ds_bpermute_b32 v47, v26, v43
	ds_bpermute_b32 v46, v26, v44
	s_mov_b32 s2, exec_lo
	s_waitcnt lgkmcnt(2)
	v_cmp_lt_f32_e64 s1, v45, v48
	v_cmpx_nlt_f32_e32 v45, v48
	s_cbranch_execz .LBB8_20
; %bb.19:                               ;   in Loop: Header=BB8_14 Depth=1
	v_cmp_eq_f32_e32 vcc_lo, v45, v48
	s_waitcnt lgkmcnt(0)
	v_cmp_lt_i32_e64 s0, v46, v44
	s_and_not1_b32 s1, s1, exec_lo
	s_delay_alu instid0(VALU_DEP_1) | instskip(NEXT) | instid1(SALU_CYCLE_1)
	s_and_b32 s0, vcc_lo, s0
	s_and_b32 s0, s0, exec_lo
	s_delay_alu instid0(SALU_CYCLE_1)
	s_or_b32 s1, s1, s0
.LBB8_20:                               ;   in Loop: Header=BB8_14 Depth=1
	s_or_b32 exec_lo, exec_lo, s2
	s_delay_alu instid0(VALU_DEP_2)
	s_and_saveexec_b32 s0, s1
	s_cbranch_execz .LBB8_22
; %bb.21:                               ;   in Loop: Header=BB8_14 Depth=1
	s_waitcnt lgkmcnt(0)
	v_dual_mov_b32 v45, v48 :: v_dual_mov_b32 v44, v46
	v_mov_b32_e32 v43, v47
.LBB8_22:                               ;   in Loop: Header=BB8_14 Depth=1
	s_or_b32 exec_lo, exec_lo, s0
	ds_bpermute_b32 v48, v32, v45
	s_waitcnt lgkmcnt(2)
	ds_bpermute_b32 v47, v32, v43
	s_waitcnt lgkmcnt(2)
	ds_bpermute_b32 v46, v32, v44
	s_mov_b32 s2, exec_lo
	s_waitcnt lgkmcnt(2)
	v_cmp_lt_f32_e64 s1, v45, v48
	v_cmpx_nlt_f32_e32 v45, v48
	s_cbranch_execz .LBB8_24
; %bb.23:                               ;   in Loop: Header=BB8_14 Depth=1
	v_cmp_eq_f32_e32 vcc_lo, v45, v48
	s_waitcnt lgkmcnt(0)
	v_cmp_lt_i32_e64 s0, v46, v44
	s_and_not1_b32 s1, s1, exec_lo
	s_delay_alu instid0(VALU_DEP_1) | instskip(NEXT) | instid1(SALU_CYCLE_1)
	s_and_b32 s0, vcc_lo, s0
	s_and_b32 s0, s0, exec_lo
	s_delay_alu instid0(SALU_CYCLE_1)
	s_or_b32 s1, s1, s0
.LBB8_24:                               ;   in Loop: Header=BB8_14 Depth=1
	s_or_b32 exec_lo, exec_lo, s2
	s_delay_alu instid0(VALU_DEP_2)
	s_and_saveexec_b32 s0, s1
	s_cbranch_execz .LBB8_26
; %bb.25:                               ;   in Loop: Header=BB8_14 Depth=1
	s_waitcnt lgkmcnt(0)
	v_dual_mov_b32 v45, v48 :: v_dual_mov_b32 v44, v46
	v_mov_b32_e32 v43, v47
.LBB8_26:                               ;   in Loop: Header=BB8_14 Depth=1
	s_or_b32 exec_lo, exec_lo, s0
	ds_bpermute_b32 v48, v33, v45
	s_waitcnt lgkmcnt(2)
	ds_bpermute_b32 v47, v33, v43
	s_waitcnt lgkmcnt(2)
	;; [unrolled: 31-line block ×3, first 2 shown]
	ds_bpermute_b32 v46, v34, v44
	s_mov_b32 s2, exec_lo
	s_waitcnt lgkmcnt(2)
	v_cmp_lt_f32_e64 s1, v45, v48
	v_cmpx_nlt_f32_e32 v45, v48
	s_cbranch_execz .LBB8_32
; %bb.31:                               ;   in Loop: Header=BB8_14 Depth=1
	v_cmp_eq_f32_e32 vcc_lo, v45, v48
	s_waitcnt lgkmcnt(0)
	v_cmp_lt_i32_e64 s0, v46, v44
	s_and_not1_b32 s1, s1, exec_lo
	s_delay_alu instid0(VALU_DEP_1) | instskip(NEXT) | instid1(SALU_CYCLE_1)
	s_and_b32 s0, vcc_lo, s0
	s_and_b32 s0, s0, exec_lo
	s_delay_alu instid0(SALU_CYCLE_1)
	s_or_b32 s1, s1, s0
.LBB8_32:                               ;   in Loop: Header=BB8_14 Depth=1
	s_or_b32 exec_lo, exec_lo, s2
	s_delay_alu instid0(VALU_DEP_2)
	s_and_saveexec_b32 s0, s1
	s_cbranch_execz .LBB8_34
; %bb.33:                               ;   in Loop: Header=BB8_14 Depth=1
	s_waitcnt lgkmcnt(0)
	v_dual_mov_b32 v43, v47 :: v_dual_mov_b32 v44, v46
.LBB8_34:                               ;   in Loop: Header=BB8_14 Depth=1
	s_or_b32 exec_lo, exec_lo, s0
	s_delay_alu instid0(VALU_DEP_1) | instskip(NEXT) | instid1(VALU_DEP_1)
	v_and_b32_e32 v45, 31, v44
	v_cmp_eq_u32_e32 vcc_lo, v45, v28
	s_and_saveexec_b32 s1, vcc_lo
	s_cbranch_execz .LBB8_36
; %bb.35:                               ;   in Loop: Header=BB8_14 Depth=1
	v_ashrrev_i32_e32 v45, 31, v44
	s_delay_alu instid0(VALU_DEP_1) | instskip(NEXT) | instid1(VALU_DEP_1)
	v_lshrrev_b32_e32 v45, 27, v45
	v_add_nc_u32_e32 v45, v44, v45
	s_delay_alu instid0(VALU_DEP_1) | instskip(NEXT) | instid1(VALU_DEP_1)
	v_ashrrev_i32_e32 v45, 5, v45
	v_cmp_ne_u32_e64 s0, 7, v45
	s_delay_alu instid0(VALU_DEP_1) | instskip(SKIP_1) | instid1(VALU_DEP_1)
	v_cndmask_b32_e64 v42, 0xff800000, v42, s0
	v_cmp_ne_u32_e64 s0, 6, v45
	v_cndmask_b32_e64 v41, 0xff800000, v41, s0
	v_cmp_ne_u32_e64 s0, 5, v45
	s_delay_alu instid0(VALU_DEP_1) | instskip(SKIP_1) | instid1(VALU_DEP_1)
	v_cndmask_b32_e64 v40, 0xff800000, v40, s0
	v_cmp_ne_u32_e64 s0, 4, v45
	v_cndmask_b32_e64 v39, 0xff800000, v39, s0
	;; [unrolled: 5-line block ×4, first 2 shown]
.LBB8_36:                               ;   in Loop: Header=BB8_14 Depth=1
	s_or_b32 exec_lo, exec_lo, s1
	s_and_saveexec_b32 s0, vcc_lo
	s_cbranch_execz .LBB8_13
; %bb.37:                               ;   in Loop: Header=BB8_14 Depth=1
	v_add_f32_e32 v45, v30, v43
	global_store_b32 v[8:9], v44, off
	v_cndmask_b32_e64 v30, v30, v45, s4
	s_branch .LBB8_13
.LBB8_38:
	s_and_b32 vcc_lo, exec_lo, s4
	s_cbranch_vccz .LBB8_40
; %bb.39:
	v_xor_b32_e32 v8, 16, v29
	s_waitcnt vmcnt(6)
	v_xor_b32_e32 v9, 8, v29
	s_waitcnt vmcnt(5)
	v_xor_b32_e32 v10, 4, v29
	v_cmp_gt_i32_e32 vcc_lo, 32, v8
	v_cndmask_b32_e32 v8, v29, v8, vcc_lo
	v_cmp_gt_i32_e32 vcc_lo, 32, v9
	v_cndmask_b32_e32 v9, v29, v9, vcc_lo
	v_cmp_gt_i32_e32 vcc_lo, 32, v10
	s_delay_alu instid0(VALU_DEP_2)
	v_lshlrev_b32_e32 v9, 2, v9
	v_lshlrev_b32_e32 v8, 2, v8
	v_cndmask_b32_e32 v10, v29, v10, vcc_lo
	ds_bpermute_b32 v8, v8, v30
	v_lshlrev_b32_e32 v10, 2, v10
	s_waitcnt lgkmcnt(0)
	v_add_f32_e32 v8, v30, v8
	ds_bpermute_b32 v9, v9, v8
	s_waitcnt lgkmcnt(0)
	v_add_f32_e32 v8, v8, v9
	ds_bpermute_b32 v9, v10, v8
	v_xor_b32_e32 v10, 2, v29
	s_delay_alu instid0(VALU_DEP_1) | instskip(SKIP_1) | instid1(VALU_DEP_1)
	v_cmp_gt_i32_e32 vcc_lo, 32, v10
	v_cndmask_b32_e32 v10, v29, v10, vcc_lo
	v_lshlrev_b32_e32 v10, 2, v10
	s_waitcnt lgkmcnt(0)
	v_add_f32_e32 v8, v8, v9
	ds_bpermute_b32 v9, v10, v8
	v_xor_b32_e32 v10, 1, v29
	s_delay_alu instid0(VALU_DEP_1) | instskip(SKIP_1) | instid1(VALU_DEP_1)
	v_cmp_gt_i32_e32 vcc_lo, 32, v10
	v_cndmask_b32_e32 v10, v29, v10, vcc_lo
	v_lshlrev_b32_e32 v10, 2, v10
	s_waitcnt lgkmcnt(0)
	v_add_f32_e32 v8, v8, v9
	ds_bpermute_b32 v9, v10, v8
	v_max_f32_e64 v10, s18, s18
	s_waitcnt lgkmcnt(0)
	v_add_f32_e32 v8, v8, v9
	s_delay_alu instid0(VALU_DEP_1) | instskip(NEXT) | instid1(VALU_DEP_1)
	v_max_f32_e32 v8, v8, v10
	v_div_scale_f32 v9, null, v8, v8, 1.0
	s_waitcnt vmcnt(3)
	v_div_scale_f32 v12, vcc_lo, 1.0, v8, 1.0
	s_delay_alu instid0(VALU_DEP_2) | instskip(SKIP_2) | instid1(VALU_DEP_1)
	v_rcp_f32_e32 v10, v9
	s_waitcnt_depctr 0xfff
	v_fma_f32 v11, -v9, v10, 1.0
	v_fmac_f32_e32 v10, v11, v10
	s_delay_alu instid0(VALU_DEP_1) | instskip(SKIP_1) | instid1(VALU_DEP_1)
	v_mul_f32_e32 v11, v12, v10
	s_waitcnt vmcnt(2)
	v_fma_f32 v13, -v9, v11, v12
	s_delay_alu instid0(VALU_DEP_1) | instskip(NEXT) | instid1(VALU_DEP_1)
	v_fmac_f32_e32 v11, v13, v10
	v_fma_f32 v9, -v9, v11, v12
	s_delay_alu instid0(VALU_DEP_1) | instskip(NEXT) | instid1(VALU_DEP_1)
	v_div_fmas_f32 v9, v9, v10, v11
	v_div_fixup_f32 v8, v9, v8, 1.0
	s_delay_alu instid0(VALU_DEP_1)
	v_mul_f32_e32 v7, v8, v7
	v_mul_f32_e32 v0, v8, v0
	;; [unrolled: 1-line block ×8, first 2 shown]
.LBB8_40:
	v_cmp_gt_i32_e64 s0, s17, v23
	v_cmp_gt_i32_e64 s1, s17, v22
	;; [unrolled: 1-line block ×8, first 2 shown]
	s_and_not1_b32 vcc_lo, exec_lo, s8
	s_cbranch_vccnz .LBB8_42
; %bb.41:
	s_waitcnt vmcnt(6)
	v_dual_max_f32 v8, v0, v0 :: v_dual_max_f32 v9, v1, v1
	s_waitcnt vmcnt(3)
	v_xor_b32_e32 v12, 4, v29
	s_waitcnt vmcnt(2)
	v_xor_b32_e32 v13, 2, v29
	;; [unrolled: 2-line block ×3, first 2 shown]
	v_max_f32_e32 v8, 0xff800000, v8
	v_max_f32_e32 v10, v2, v2
	s_delay_alu instid0(VALU_DEP_2) | instskip(NEXT) | instid1(VALU_DEP_1)
	v_cndmask_b32_e64 v8, 0xff800000, v8, s7
	v_max_f32_e32 v9, v8, v9
	s_delay_alu instid0(VALU_DEP_1) | instskip(NEXT) | instid1(VALU_DEP_1)
	v_cndmask_b32_e64 v8, v8, v9, s0
	v_dual_max_f32 v9, v8, v10 :: v_dual_max_f32 v10, v3, v3
	s_delay_alu instid0(VALU_DEP_1) | instskip(NEXT) | instid1(VALU_DEP_1)
	v_cndmask_b32_e64 v8, v8, v9, s1
	v_max_f32_e32 v9, v8, v10
	v_max_f32_e32 v10, v4, v4
	s_delay_alu instid0(VALU_DEP_2) | instskip(NEXT) | instid1(VALU_DEP_1)
	v_cndmask_b32_e64 v8, v8, v9, s2
	v_max_f32_e32 v9, v8, v10
	s_delay_alu instid0(VALU_DEP_1) | instskip(NEXT) | instid1(VALU_DEP_1)
	v_cndmask_b32_e64 v8, v8, v9, s3
	v_dual_max_f32 v9, v5, v5 :: v_dual_max_f32 v10, v8, v8
	s_delay_alu instid0(VALU_DEP_1) | instskip(NEXT) | instid1(VALU_DEP_1)
	v_max_f32_e32 v9, v10, v9
	v_cndmask_b32_e64 v8, v8, v9, s4
	s_delay_alu instid0(VALU_DEP_1) | instskip(NEXT) | instid1(VALU_DEP_1)
	v_dual_max_f32 v9, v6, v6 :: v_dual_max_f32 v10, v8, v8
	v_dual_max_f32 v9, v10, v9 :: v_dual_max_f32 v10, v7, v7
	s_delay_alu instid0(VALU_DEP_1) | instskip(SKIP_1) | instid1(VALU_DEP_2)
	v_cndmask_b32_e64 v8, v8, v9, s5
	v_xor_b32_e32 v9, 16, v29
	v_max_f32_e32 v11, v8, v8
	s_delay_alu instid0(VALU_DEP_2) | instskip(NEXT) | instid1(VALU_DEP_2)
	v_cmp_gt_i32_e32 vcc_lo, 32, v9
	v_dual_max_f32 v10, v11, v10 :: v_dual_cndmask_b32 v9, v29, v9
	v_xor_b32_e32 v11, 8, v29
	s_delay_alu instid0(VALU_DEP_2) | instskip(NEXT) | instid1(VALU_DEP_3)
	v_cndmask_b32_e64 v8, v8, v10, s6
	v_lshlrev_b32_e32 v9, 2, v9
	s_delay_alu instid0(VALU_DEP_3)
	v_cmp_gt_i32_e32 vcc_lo, 32, v11
	ds_bpermute_b32 v10, v9, v8
	v_max_f32_e32 v8, v8, v8
	s_waitcnt lgkmcnt(0)
	v_dual_max_f32 v10, v10, v10 :: v_dual_cndmask_b32 v11, v29, v11
	v_cmp_gt_i32_e32 vcc_lo, 32, v12
	s_delay_alu instid0(VALU_DEP_2)
	v_dual_max_f32 v8, v8, v10 :: v_dual_lshlrev_b32 v11, 2, v11
	v_cndmask_b32_e32 v12, v29, v12, vcc_lo
	v_cmp_gt_i32_e32 vcc_lo, 32, v13
	ds_bpermute_b32 v10, v11, v8
	v_dual_cndmask_b32 v13, v29, v13 :: v_dual_lshlrev_b32 v12, 2, v12
	v_cmp_gt_i32_e32 vcc_lo, 32, v14
	s_delay_alu instid0(VALU_DEP_2) | instskip(NEXT) | instid1(VALU_DEP_1)
	v_dual_cndmask_b32 v14, v29, v14 :: v_dual_lshlrev_b32 v13, 2, v13
	v_lshlrev_b32_e32 v14, 2, v14
	s_waitcnt lgkmcnt(0)
	v_max_f32_e32 v10, v10, v10
	s_delay_alu instid0(VALU_DEP_1) | instskip(SKIP_3) | instid1(VALU_DEP_1)
	v_max_f32_e32 v8, v8, v10
	ds_bpermute_b32 v10, v12, v8
	s_waitcnt lgkmcnt(0)
	v_max_f32_e32 v10, v10, v10
	v_max_f32_e32 v8, v8, v10
	ds_bpermute_b32 v10, v13, v8
	s_waitcnt lgkmcnt(0)
	v_max_f32_e32 v10, v10, v10
	s_delay_alu instid0(VALU_DEP_1) | instskip(SKIP_3) | instid1(VALU_DEP_1)
	v_max_f32_e32 v8, v8, v10
	ds_bpermute_b32 v10, v14, v8
	s_waitcnt lgkmcnt(0)
	v_max_f32_e32 v10, v10, v10
	v_max_f32_e32 v8, v8, v10
	s_delay_alu instid0(VALU_DEP_1) | instskip(SKIP_1) | instid1(VALU_DEP_1)
	v_sub_f32_e32 v2, v2, v8
	s_waitcnt vmcnt(0)
	v_mul_f32_e32 v15, 0x3fb8aa3b, v2
	s_delay_alu instid0(VALU_DEP_1) | instskip(SKIP_1) | instid1(VALU_DEP_2)
	v_rndne_f32_e32 v36, v15
	v_fma_f32 v35, 0x3fb8aa3b, v2, -v15
	v_sub_f32_e32 v15, v15, v36
	v_sub_f32_e32 v3, v3, v8
	;; [unrolled: 1-line block ×4, first 2 shown]
	s_delay_alu instid0(VALU_DEP_3) | instskip(NEXT) | instid1(VALU_DEP_3)
	v_dual_sub_f32 v7, v7, v8 :: v_dual_mul_f32 v16, 0x3fb8aa3b, v3
	v_mul_f32_e32 v26, 0x3fb8aa3b, v5
	s_delay_alu instid0(VALU_DEP_2) | instskip(NEXT) | instid1(VALU_DEP_2)
	v_fma_f32 v37, 0x3fb8aa3b, v3, -v16
	v_fma_f32 v41, 0x3fb8aa3b, v5, -v26
	v_sub_f32_e32 v6, v6, v8
	v_rndne_f32_e32 v38, v16
	s_delay_alu instid0(VALU_DEP_4) | instskip(NEXT) | instid1(VALU_DEP_4)
	v_fmac_f32_e32 v37, 0x32a5705f, v3
	v_dual_fmac_f32 v41, 0x32a5705f, v5 :: v_dual_sub_f32 v0, v0, v8
	s_delay_alu instid0(VALU_DEP_4) | instskip(SKIP_1) | instid1(VALU_DEP_3)
	v_dual_mul_f32 v29, 0x3fb8aa3b, v6 :: v_dual_sub_f32 v4, v4, v8
	v_fmac_f32_e32 v35, 0x32a5705f, v2
	v_mul_f32_e32 v8, 0x3fb8aa3b, v0
	s_delay_alu instid0(VALU_DEP_3) | instskip(NEXT) | instid1(VALU_DEP_4)
	v_fma_f32 v43, 0x3fb8aa3b, v6, -v29
	v_mul_f32_e32 v25, 0x3fb8aa3b, v4
	s_delay_alu instid0(VALU_DEP_4)
	v_add_f32_e32 v15, v15, v35
	v_cmp_ngt_f32_e32 vcc_lo, 0xc2ce8ed0, v0
	v_fma_f32 v31, 0x3fb8aa3b, v0, -v8
	v_rndne_f32_e32 v32, v8
	v_rndne_f32_e32 v40, v25
	v_mul_f32_e32 v10, 0x3fb8aa3b, v1
	v_fma_f32 v39, 0x3fb8aa3b, v4, -v25
	v_fmac_f32_e32 v31, 0x32a5705f, v0
	v_dual_sub_f32 v8, v8, v32 :: v_dual_fmac_f32 v43, 0x32a5705f, v6
	v_sub_f32_e32 v25, v25, v40
	v_fma_f32 v33, 0x3fb8aa3b, v1, -v10
	v_rndne_f32_e32 v34, v10
	s_delay_alu instid0(VALU_DEP_4) | instskip(SKIP_1) | instid1(VALU_DEP_3)
	v_dual_add_f32 v8, v8, v31 :: v_dual_fmac_f32 v39, 0x32a5705f, v4
	v_cvt_i32_f32_e32 v32, v32
	v_dual_fmac_f32 v33, 0x32a5705f, v1 :: v_dual_sub_f32 v10, v10, v34
	s_delay_alu instid0(VALU_DEP_3)
	v_exp_f32_e32 v8, v8
	v_cvt_i32_f32_e32 v34, v34
	v_exp_f32_e32 v15, v15
	v_cvt_i32_f32_e32 v31, v36
	v_add_f32_e32 v10, v10, v33
	v_cvt_i32_f32_e32 v33, v38
	v_cvt_i32_f32_e32 v36, v40
	v_rndne_f32_e32 v44, v29
	s_delay_alu instid0(VALU_DEP_4) | instskip(NEXT) | instid1(TRANS32_DEP_3)
	v_exp_f32_e32 v10, v10
	v_ldexp_f32 v8, v8, v32
	s_delay_alu instid0(TRANS32_DEP_2) | instskip(NEXT) | instid1(VALU_DEP_2)
	v_ldexp_f32 v15, v15, v31
	v_cndmask_b32_e32 v8, 0, v8, vcc_lo
	v_cmp_ngt_f32_e32 vcc_lo, 0xc2ce8ed0, v1
	s_waitcnt_depctr 0xfff
	v_ldexp_f32 v10, v10, v34
	s_delay_alu instid0(VALU_DEP_1) | instskip(SKIP_3) | instid1(VALU_DEP_2)
	v_cndmask_b32_e32 v10, 0, v10, vcc_lo
	v_cmp_nlt_f32_e32 vcc_lo, 0x42b17218, v0
	v_cndmask_b32_e32 v0, 0x7f800000, v8, vcc_lo
	v_cmp_nlt_f32_e32 vcc_lo, 0x42b17218, v1
	v_cndmask_b32_e64 v0, 0, v0, s7
	v_cndmask_b32_e32 v1, 0x7f800000, v10, vcc_lo
	v_cmp_ngt_f32_e32 vcc_lo, 0xc2ce8ed0, v2
	v_mul_f32_e32 v30, 0x3fb8aa3b, v7
	v_add_f32_e32 v10, v25, v39
	s_delay_alu instid0(VALU_DEP_4)
	v_add_f32_e32 v25, v1, v0
	v_cndmask_b32_e32 v15, 0, v15, vcc_lo
	v_rndne_f32_e32 v42, v26
	v_cmp_nlt_f32_e32 vcc_lo, 0x42b17218, v2
	v_exp_f32_e32 v10, v10
	v_fma_f32 v45, 0x3fb8aa3b, v7, -v30
	v_rndne_f32_e32 v46, v30
	v_sub_f32_e32 v26, v26, v42
	v_sub_f32_e32 v16, v16, v38
	v_cndmask_b32_e32 v2, 0x7f800000, v15, vcc_lo
	v_cndmask_b32_e64 v15, v0, v25, s0
	v_cmp_ngt_f32_e32 vcc_lo, 0xc2ce8ed0, v3
	v_add_f32_e32 v25, v26, v41
	v_add_f32_e32 v16, v16, v37
	v_ldexp_f32 v10, v10, v36
	v_add_f32_e32 v26, v15, v2
	v_cvt_i32_f32_e32 v35, v42
	v_exp_f32_e32 v25, v25
	v_exp_f32_e32 v8, v16
	v_fmac_f32_e32 v45, 0x32a5705f, v7
	v_cndmask_b32_e64 v1, 0, v1, s0
	s_waitcnt_depctr 0xfff
	v_ldexp_f32 v25, v25, v35
	v_ldexp_f32 v8, v8, v33
	s_delay_alu instid0(VALU_DEP_1) | instskip(SKIP_1) | instid1(VALU_DEP_2)
	v_cndmask_b32_e32 v8, 0, v8, vcc_lo
	v_cmp_nlt_f32_e32 vcc_lo, 0x42b17218, v3
	v_cndmask_b32_e32 v3, 0x7f800000, v8, vcc_lo
	v_cndmask_b32_e64 v8, v15, v26, s1
	v_cmp_ngt_f32_e32 vcc_lo, 0xc2ce8ed0, v4
	s_delay_alu instid0(VALU_DEP_2) | instskip(SKIP_3) | instid1(VALU_DEP_4)
	v_add_f32_e32 v26, v8, v3
	v_cndmask_b32_e32 v10, 0, v10, vcc_lo
	v_cmp_nlt_f32_e32 vcc_lo, 0x42b17218, v4
	v_cndmask_b32_e64 v3, 0, v3, s2
	v_cndmask_b32_e64 v8, v8, v26, s2
	s_delay_alu instid0(VALU_DEP_4) | instskip(SKIP_1) | instid1(VALU_DEP_2)
	v_cndmask_b32_e32 v4, 0x7f800000, v10, vcc_lo
	v_cmp_ngt_f32_e32 vcc_lo, 0xc2ce8ed0, v5
	v_dual_add_f32 v26, v8, v4 :: v_dual_cndmask_b32 v25, 0, v25
	v_cmp_nlt_f32_e32 vcc_lo, 0x42b17218, v5
	v_cndmask_b32_e64 v4, 0, v4, s3
	s_delay_alu instid0(VALU_DEP_3) | instskip(NEXT) | instid1(VALU_DEP_4)
	v_cndmask_b32_e64 v8, v8, v26, s3
	v_cndmask_b32_e32 v5, 0x7f800000, v25, vcc_lo
	v_cmp_ngt_f32_e32 vcc_lo, 0xc2ce8ed0, v6
	s_delay_alu instid0(VALU_DEP_2) | instskip(SKIP_1) | instid1(VALU_DEP_2)
	v_add_f32_e32 v25, v8, v5
	v_cndmask_b32_e64 v5, 0, v5, s4
	v_cndmask_b32_e64 v8, v8, v25, s4
	v_sub_f32_e32 v16, v29, v44
	s_delay_alu instid0(VALU_DEP_1) | instskip(NEXT) | instid1(VALU_DEP_1)
	v_dual_add_f32 v15, v16, v43 :: v_dual_sub_f32 v16, v30, v46
	v_exp_f32_e32 v15, v15
	s_delay_alu instid0(VALU_DEP_1) | instskip(SKIP_1) | instid1(VALU_DEP_2)
	v_add_f32_e32 v10, v16, v45
	v_cvt_i32_f32_e32 v16, v44
	v_exp_f32_e32 v10, v10
	s_waitcnt_depctr 0xfff
	v_ldexp_f32 v15, v15, v16
	v_cvt_i32_f32_e32 v16, v46
	s_delay_alu instid0(VALU_DEP_2) | instskip(SKIP_1) | instid1(VALU_DEP_3)
	v_cndmask_b32_e32 v15, 0, v15, vcc_lo
	v_cmp_nlt_f32_e32 vcc_lo, 0x42b17218, v6
	v_ldexp_f32 v10, v10, v16
	s_delay_alu instid0(VALU_DEP_3) | instskip(SKIP_1) | instid1(VALU_DEP_2)
	v_cndmask_b32_e32 v6, 0x7f800000, v15, vcc_lo
	v_cmp_ngt_f32_e32 vcc_lo, 0xc2ce8ed0, v7
	v_add_f32_e32 v15, v8, v6
	s_delay_alu instid0(VALU_DEP_4) | instskip(SKIP_2) | instid1(VALU_DEP_4)
	v_cndmask_b32_e32 v10, 0, v10, vcc_lo
	v_cmp_nlt_f32_e32 vcc_lo, 0x42b17218, v7
	v_cndmask_b32_e64 v6, 0, v6, s5
	v_cndmask_b32_e64 v8, v8, v15, s5
	s_delay_alu instid0(VALU_DEP_4) | instskip(NEXT) | instid1(VALU_DEP_1)
	v_cndmask_b32_e32 v7, 0x7f800000, v10, vcc_lo
	v_add_f32_e32 v10, v8, v7
	v_cndmask_b32_e64 v7, 0, v7, s6
	s_delay_alu instid0(VALU_DEP_2)
	v_cndmask_b32_e64 v8, v8, v10, s6
	ds_bpermute_b32 v9, v9, v8
	s_waitcnt lgkmcnt(0)
	v_add_f32_e32 v8, v8, v9
	ds_bpermute_b32 v9, v11, v8
	s_waitcnt lgkmcnt(0)
	v_add_f32_e32 v8, v8, v9
	ds_bpermute_b32 v9, v12, v8
	s_waitcnt lgkmcnt(0)
	v_add_f32_e32 v8, v8, v9
	ds_bpermute_b32 v9, v13, v8
	s_waitcnt lgkmcnt(0)
	v_add_f32_e32 v8, v8, v9
	ds_bpermute_b32 v9, v14, v8
	s_waitcnt lgkmcnt(0)
	v_add_f32_e32 v8, v8, v9
	s_delay_alu instid0(VALU_DEP_1) | instskip(SKIP_1) | instid1(VALU_DEP_2)
	v_div_scale_f32 v9, null, v8, v8, 1.0
	v_div_scale_f32 v12, vcc_lo, 1.0, v8, 1.0
	v_rcp_f32_e32 v10, v9
	s_waitcnt_depctr 0xfff
	v_fma_f32 v11, -v9, v10, 1.0
	s_delay_alu instid0(VALU_DEP_1) | instskip(NEXT) | instid1(VALU_DEP_1)
	v_fmac_f32_e32 v10, v11, v10
	v_mul_f32_e32 v11, v12, v10
	v_cndmask_b32_e64 v2, 0, v2, s1
	s_delay_alu instid0(VALU_DEP_2) | instskip(NEXT) | instid1(VALU_DEP_1)
	v_fma_f32 v13, -v9, v11, v12
	v_fmac_f32_e32 v11, v13, v10
	s_delay_alu instid0(VALU_DEP_1) | instskip(NEXT) | instid1(VALU_DEP_1)
	v_fma_f32 v9, -v9, v11, v12
	v_div_fmas_f32 v9, v9, v10, v11
	s_delay_alu instid0(VALU_DEP_1) | instskip(NEXT) | instid1(VALU_DEP_1)
	v_div_fixup_f32 v8, v9, v8, 1.0
	v_mul_f32_e32 v13, v4, v8
	v_mul_f32_e32 v9, v0, v8
	;; [unrolled: 1-line block ×8, first 2 shown]
	v_cndmask_b32_e64 v0, v0, v9, s7
	v_cndmask_b32_e64 v1, v1, v10, s0
	;; [unrolled: 1-line block ×8, first 2 shown]
.LBB8_42:
	v_mul_lo_u32 v8, v24, s17
	s_mov_b32 s0, exec_lo
	s_waitcnt vmcnt(6)
	s_delay_alu instid0(VALU_DEP_1) | instskip(NEXT) | instid1(VALU_DEP_1)
	v_ashrrev_i32_e32 v9, 31, v8
	v_lshlrev_b64 v[8:9], 2, v[8:9]
	s_delay_alu instid0(VALU_DEP_1) | instskip(NEXT) | instid1(VALU_DEP_2)
	v_add_co_u32 v8, vcc_lo, s10, v8
	v_add_co_ci_u32_e32 v9, vcc_lo, s11, v9, vcc_lo
	v_cmpx_gt_i32_e64 s17, v28
	s_cbranch_execnz .LBB8_52
; %bb.43:
	s_or_b32 exec_lo, exec_lo, s0
	s_delay_alu instid0(SALU_CYCLE_1)
	s_mov_b32 s0, exec_lo
	v_cmpx_gt_i32_e64 s17, v23
	s_cbranch_execnz .LBB8_53
.LBB8_44:
	s_or_b32 exec_lo, exec_lo, s0
	s_delay_alu instid0(SALU_CYCLE_1)
	s_mov_b32 s0, exec_lo
	v_cmpx_gt_i32_e64 s17, v22
	s_cbranch_execnz .LBB8_54
.LBB8_45:
	s_or_b32 exec_lo, exec_lo, s0
	s_delay_alu instid0(SALU_CYCLE_1)
	s_mov_b32 s0, exec_lo
	v_cmpx_gt_i32_e64 s17, v21
	s_cbranch_execnz .LBB8_55
.LBB8_46:
	s_or_b32 exec_lo, exec_lo, s0
	s_delay_alu instid0(SALU_CYCLE_1)
	s_mov_b32 s0, exec_lo
	v_cmpx_gt_i32_e64 s17, v20
	s_cbranch_execnz .LBB8_56
.LBB8_47:
	s_or_b32 exec_lo, exec_lo, s0
	s_delay_alu instid0(SALU_CYCLE_1)
	s_mov_b32 s0, exec_lo
	v_cmpx_gt_i32_e64 s17, v19
	s_cbranch_execnz .LBB8_57
.LBB8_48:
	s_or_b32 exec_lo, exec_lo, s0
	s_delay_alu instid0(SALU_CYCLE_1)
	s_mov_b32 s0, exec_lo
	v_cmpx_gt_i32_e64 s17, v18
	s_cbranch_execnz .LBB8_58
.LBB8_49:
	s_or_b32 exec_lo, exec_lo, s0
	v_cmp_gt_i32_e32 vcc_lo, s17, v17
	s_and_b32 exec_lo, exec_lo, vcc_lo
	s_cbranch_execz .LBB8_51
.LBB8_50:
	v_add_co_u32 v0, vcc_lo, v8, v27
	v_add_co_ci_u32_e32 v1, vcc_lo, 0, v9, vcc_lo
	v_mul_f32_e32 v2, s19, v7
	global_store_b32 v[0:1], v2, off offset:896
.LBB8_51:
	s_nop 0
	s_sendmsg sendmsg(MSG_DEALLOC_VGPRS)
	s_endpgm
.LBB8_52:
	s_waitcnt vmcnt(5)
	v_add_co_u32 v10, vcc_lo, v8, v27
	s_waitcnt vmcnt(4)
	v_add_co_ci_u32_e32 v11, vcc_lo, 0, v9, vcc_lo
	v_mul_f32_e32 v0, s19, v0
	global_store_b32 v[10:11], v0, off
	s_or_b32 exec_lo, exec_lo, s0
	s_delay_alu instid0(SALU_CYCLE_1)
	s_mov_b32 s0, exec_lo
	v_cmpx_gt_i32_e64 s17, v23
	s_cbranch_execz .LBB8_44
.LBB8_53:
	s_waitcnt vmcnt(5)
	v_add_co_u32 v10, vcc_lo, v8, v27
	s_waitcnt vmcnt(4)
	v_add_co_ci_u32_e32 v11, vcc_lo, 0, v9, vcc_lo
	v_mul_f32_e32 v0, s19, v1
	global_store_b32 v[10:11], v0, off offset:128
	s_or_b32 exec_lo, exec_lo, s0
	s_delay_alu instid0(SALU_CYCLE_1)
	s_mov_b32 s0, exec_lo
	v_cmpx_gt_i32_e64 s17, v22
	s_cbranch_execz .LBB8_45
.LBB8_54:
	v_add_co_u32 v0, vcc_lo, v8, v27
	v_add_co_ci_u32_e32 v1, vcc_lo, 0, v9, vcc_lo
	v_mul_f32_e32 v2, s19, v2
	global_store_b32 v[0:1], v2, off offset:256
	s_or_b32 exec_lo, exec_lo, s0
	s_delay_alu instid0(SALU_CYCLE_1)
	s_mov_b32 s0, exec_lo
	v_cmpx_gt_i32_e64 s17, v21
	s_cbranch_execz .LBB8_46
.LBB8_55:
	v_add_co_u32 v0, vcc_lo, v8, v27
	v_add_co_ci_u32_e32 v1, vcc_lo, 0, v9, vcc_lo
	v_mul_f32_e32 v2, s19, v3
	global_store_b32 v[0:1], v2, off offset:384
	s_or_b32 exec_lo, exec_lo, s0
	s_delay_alu instid0(SALU_CYCLE_1)
	s_mov_b32 s0, exec_lo
	v_cmpx_gt_i32_e64 s17, v20
	s_cbranch_execz .LBB8_47
.LBB8_56:
	v_add_co_u32 v0, vcc_lo, v8, v27
	v_add_co_ci_u32_e32 v1, vcc_lo, 0, v9, vcc_lo
	v_mul_f32_e32 v2, s19, v4
	global_store_b32 v[0:1], v2, off offset:512
	s_or_b32 exec_lo, exec_lo, s0
	s_delay_alu instid0(SALU_CYCLE_1)
	s_mov_b32 s0, exec_lo
	v_cmpx_gt_i32_e64 s17, v19
	s_cbranch_execz .LBB8_48
.LBB8_57:
	v_add_co_u32 v0, vcc_lo, v8, v27
	v_add_co_ci_u32_e32 v1, vcc_lo, 0, v9, vcc_lo
	v_mul_f32_e32 v2, s19, v5
	global_store_b32 v[0:1], v2, off offset:640
	s_or_b32 exec_lo, exec_lo, s0
	s_delay_alu instid0(SALU_CYCLE_1)
	s_mov_b32 s0, exec_lo
	v_cmpx_gt_i32_e64 s17, v18
	s_cbranch_execz .LBB8_49
.LBB8_58:
	v_add_co_u32 v0, vcc_lo, v8, v27
	v_add_co_ci_u32_e32 v1, vcc_lo, 0, v9, vcc_lo
	v_mul_f32_e32 v2, s19, v6
	global_store_b32 v[0:1], v2, off offset:768
	s_or_b32 exec_lo, exec_lo, s0
	v_cmp_gt_i32_e32 vcc_lo, s17, v17
	s_and_b32 exec_lo, exec_lo, vcc_lo
	s_cbranch_execnz .LBB8_50
	s_branch .LBB8_51
	.section	.rodata,"a",@progbits
	.p2align	6, 0x0
	.amdhsa_kernel _Z13topk_moe_cudaILi256ELb1EEvPKfPfPiS2_iiff15topk_moe_config
		.amdhsa_group_segment_fixed_size 0
		.amdhsa_private_segment_fixed_size 0
		.amdhsa_kernarg_size 312
		.amdhsa_user_sgpr_count 15
		.amdhsa_user_sgpr_dispatch_ptr 0
		.amdhsa_user_sgpr_queue_ptr 0
		.amdhsa_user_sgpr_kernarg_segment_ptr 1
		.amdhsa_user_sgpr_dispatch_id 0
		.amdhsa_user_sgpr_private_segment_size 0
		.amdhsa_wavefront_size32 1
		.amdhsa_uses_dynamic_stack 0
		.amdhsa_enable_private_segment 0
		.amdhsa_system_sgpr_workgroup_id_x 1
		.amdhsa_system_sgpr_workgroup_id_y 0
		.amdhsa_system_sgpr_workgroup_id_z 0
		.amdhsa_system_sgpr_workgroup_info 0
		.amdhsa_system_vgpr_workitem_id 1
		.amdhsa_next_free_vgpr 52
		.amdhsa_next_free_sgpr 20
		.amdhsa_reserve_vcc 1
		.amdhsa_float_round_mode_32 0
		.amdhsa_float_round_mode_16_64 0
		.amdhsa_float_denorm_mode_32 3
		.amdhsa_float_denorm_mode_16_64 3
		.amdhsa_dx10_clamp 1
		.amdhsa_ieee_mode 1
		.amdhsa_fp16_overflow 0
		.amdhsa_workgroup_processor_mode 1
		.amdhsa_memory_ordered 1
		.amdhsa_forward_progress 0
		.amdhsa_shared_vgpr_count 0
		.amdhsa_exception_fp_ieee_invalid_op 0
		.amdhsa_exception_fp_denorm_src 0
		.amdhsa_exception_fp_ieee_div_zero 0
		.amdhsa_exception_fp_ieee_overflow 0
		.amdhsa_exception_fp_ieee_underflow 0
		.amdhsa_exception_fp_ieee_inexact 0
		.amdhsa_exception_int_div_zero 0
	.end_amdhsa_kernel
	.section	.text._Z13topk_moe_cudaILi256ELb1EEvPKfPfPiS2_iiff15topk_moe_config,"axG",@progbits,_Z13topk_moe_cudaILi256ELb1EEvPKfPfPiS2_iiff15topk_moe_config,comdat
.Lfunc_end8:
	.size	_Z13topk_moe_cudaILi256ELb1EEvPKfPfPiS2_iiff15topk_moe_config, .Lfunc_end8-_Z13topk_moe_cudaILi256ELb1EEvPKfPfPiS2_iiff15topk_moe_config
                                        ; -- End function
	.section	.AMDGPU.csdata,"",@progbits
; Kernel info:
; codeLenInByte = 7600
; NumSgprs: 22
; NumVgprs: 52
; ScratchSize: 0
; MemoryBound: 0
; FloatMode: 240
; IeeeMode: 1
; LDSByteSize: 0 bytes/workgroup (compile time only)
; SGPRBlocks: 2
; VGPRBlocks: 6
; NumSGPRsForWavesPerEU: 22
; NumVGPRsForWavesPerEU: 52
; Occupancy: 16
; WaveLimiterHint : 1
; COMPUTE_PGM_RSRC2:SCRATCH_EN: 0
; COMPUTE_PGM_RSRC2:USER_SGPR: 15
; COMPUTE_PGM_RSRC2:TRAP_HANDLER: 0
; COMPUTE_PGM_RSRC2:TGID_X_EN: 1
; COMPUTE_PGM_RSRC2:TGID_Y_EN: 0
; COMPUTE_PGM_RSRC2:TGID_Z_EN: 0
; COMPUTE_PGM_RSRC2:TIDIG_COMP_CNT: 1
	.section	.text._Z13topk_moe_cudaILi512ELb1EEvPKfPfPiS2_iiff15topk_moe_config,"axG",@progbits,_Z13topk_moe_cudaILi512ELb1EEvPKfPfPiS2_iiff15topk_moe_config,comdat
	.protected	_Z13topk_moe_cudaILi512ELb1EEvPKfPfPiS2_iiff15topk_moe_config ; -- Begin function _Z13topk_moe_cudaILi512ELb1EEvPKfPfPiS2_iiff15topk_moe_config
	.globl	_Z13topk_moe_cudaILi512ELb1EEvPKfPfPiS2_iiff15topk_moe_config
	.p2align	8
	.type	_Z13topk_moe_cudaILi512ELb1EEvPKfPfPiS2_iiff15topk_moe_config,@function
_Z13topk_moe_cudaILi512ELb1EEvPKfPfPiS2_iiff15topk_moe_config: ; @_Z13topk_moe_cudaILi512ELb1EEvPKfPfPiS2_iiff15topk_moe_config
; %bb.0:
	s_clause 0x1
	s_load_b32 s2, s[0:1], 0x44
	s_load_b128 s[24:27], s[0:1], 0x20
	v_bfe_u32 v1, v0, 10, 10
	s_waitcnt lgkmcnt(0)
	s_lshr_b32 s2, s2, 16
	s_delay_alu instid0(VALU_DEP_1) | instid1(SALU_CYCLE_1)
	v_mad_u64_u32 v[32:33], null, s15, s2, v[1:2]
	s_mov_b32 s2, exec_lo
	s_delay_alu instid0(VALU_DEP_1)
	v_cmpx_gt_i32_e64 s24, v32
	s_cbranch_execz .LBB9_58
; %bb.1:
	s_load_b256 s[16:23], s[0:1], 0x0
	v_lshlrev_b32_e32 v1, 9, v32
	v_dual_mov_b32 v3, 0 :: v_dual_and_b32 v36, 0x3ff, v0
	s_delay_alu instid0(VALU_DEP_2) | instskip(NEXT) | instid1(VALU_DEP_2)
	v_ashrrev_i32_e32 v2, 31, v1
	v_lshlrev_b32_e32 v35, 2, v36
	s_delay_alu instid0(VALU_DEP_2) | instskip(SKIP_1) | instid1(VALU_DEP_1)
	v_lshlrev_b64 v[16:17], 2, v[1:2]
	s_waitcnt lgkmcnt(0)
	v_add_co_u32 v0, vcc_lo, s16, v16
	s_delay_alu instid0(VALU_DEP_2) | instskip(NEXT) | instid1(VALU_DEP_2)
	v_add_co_ci_u32_e32 v2, vcc_lo, s17, v17, vcc_lo
	v_add_co_u32 v1, vcc_lo, v0, v35
	s_delay_alu instid0(VALU_DEP_2)
	v_add_co_ci_u32_e32 v2, vcc_lo, 0, v2, vcc_lo
	global_load_u16 v0, v3, s[0:1] offset:48
	s_clause 0xf
	global_load_b32 v34, v[1:2], off
	global_load_b32 v33, v[1:2], off offset:128
	global_load_b32 v31, v[1:2], off offset:256
	;; [unrolled: 1-line block ×15, first 2 shown]
	s_load_b32 s0, s[0:1], 0x30
	s_waitcnt lgkmcnt(0)
	s_bitcmp1_b32 s0, 16
	s_cselect_b32 s16, -1, 0
	s_delay_alu instid0(SALU_CYCLE_1)
	s_and_b32 vcc_lo, exec_lo, s16
	s_cbranch_vccnz .LBB9_7
; %bb.2:
	s_waitcnt vmcnt(16)
	v_and_b32_e32 v1, 1, v0
	s_delay_alu instid0(VALU_DEP_1)
	v_cmp_eq_u32_e32 vcc_lo, 0, v1
	s_cbranch_vccz .LBB9_4
; %bb.3:
	s_waitcnt vmcnt(14)
	v_max3_f32 v1, v34, 0xff800000, v33
	v_mbcnt_lo_u32_b32 v2, -1, 0
	s_waitcnt vmcnt(12)
	s_delay_alu instid0(VALU_DEP_2) | instskip(NEXT) | instid1(VALU_DEP_2)
	v_max3_f32 v1, v1, v31, v30
	v_xor_b32_e32 v3, 16, v2
	v_xor_b32_e32 v5, 8, v2
	;; [unrolled: 1-line block ×4, first 2 shown]
	s_waitcnt vmcnt(10)
	v_max3_f32 v1, v1, v29, v28
	v_cmp_gt_i32_e32 vcc_lo, 32, v3
	v_xor_b32_e32 v8, 1, v2
	s_waitcnt vmcnt(8)
	s_delay_alu instid0(VALU_DEP_3) | instskip(SKIP_3) | instid1(VALU_DEP_3)
	v_max3_f32 v1, v1, v27, v26
	v_cndmask_b32_e32 v3, v2, v3, vcc_lo
	v_cmp_gt_i32_e32 vcc_lo, 32, v5
	s_waitcnt vmcnt(6)
	v_max3_f32 v1, v1, v25, v24
	v_cndmask_b32_e32 v5, v2, v5, vcc_lo
	v_cmp_gt_i32_e32 vcc_lo, 32, v6
	v_lshlrev_b32_e32 v3, 2, v3
	s_waitcnt vmcnt(4)
	v_max3_f32 v1, v1, v23, v22
	v_dual_cndmask_b32 v6, v2, v6 :: v_dual_lshlrev_b32 v5, 2, v5
	v_cmp_gt_i32_e32 vcc_lo, 32, v7
	s_waitcnt vmcnt(2)
	s_delay_alu instid0(VALU_DEP_3) | instskip(NEXT) | instid1(VALU_DEP_3)
	v_max3_f32 v1, v1, v21, v20
	v_dual_cndmask_b32 v7, v2, v7 :: v_dual_lshlrev_b32 v6, 2, v6
	s_waitcnt vmcnt(0)
	s_delay_alu instid0(VALU_DEP_2) | instskip(SKIP_1) | instid1(VALU_DEP_3)
	v_max3_f32 v1, v1, v19, v18
	v_cmp_gt_i32_e32 vcc_lo, 32, v8
	v_lshlrev_b32_e32 v7, 2, v7
	ds_bpermute_b32 v4, v3, v1
	v_cndmask_b32_e32 v2, v2, v8, vcc_lo
	s_delay_alu instid0(VALU_DEP_1) | instskip(SKIP_2) | instid1(VALU_DEP_1)
	v_lshlrev_b32_e32 v2, 2, v2
	s_waitcnt lgkmcnt(0)
	v_max_f32_e32 v4, v4, v4
	v_max_f32_e32 v1, v1, v4
	ds_bpermute_b32 v4, v5, v1
	s_waitcnt lgkmcnt(0)
	v_max_f32_e32 v4, v4, v4
	s_delay_alu instid0(VALU_DEP_1) | instskip(SKIP_3) | instid1(VALU_DEP_1)
	v_max_f32_e32 v1, v1, v4
	ds_bpermute_b32 v4, v6, v1
	s_waitcnt lgkmcnt(0)
	v_max_f32_e32 v4, v4, v4
	v_max_f32_e32 v1, v1, v4
	ds_bpermute_b32 v4, v7, v1
	s_waitcnt lgkmcnt(0)
	v_max_f32_e32 v4, v4, v4
	s_delay_alu instid0(VALU_DEP_1) | instskip(SKIP_3) | instid1(VALU_DEP_1)
	v_max_f32_e32 v1, v1, v4
	ds_bpermute_b32 v4, v2, v1
	s_waitcnt lgkmcnt(0)
	v_max_f32_e32 v4, v4, v4
	v_max_f32_e32 v1, v1, v4
	s_delay_alu instid0(VALU_DEP_1) | instskip(NEXT) | instid1(VALU_DEP_1)
	v_sub_f32_e32 v37, v24, v1
	v_mul_f32_e32 v52, 0x3fb8aa3b, v37
	v_sub_f32_e32 v11, v29, v1
	v_sub_f32_e32 v4, v34, v1
	;; [unrolled: 1-line block ×3, first 2 shown]
	s_delay_alu instid0(VALU_DEP_4) | instskip(NEXT) | instid1(VALU_DEP_4)
	v_rndne_f32_e32 v78, v52
	v_dual_mul_f32 v47, 0x3fb8aa3b, v11 :: v_dual_sub_f32 v8, v33, v1
	s_delay_alu instid0(VALU_DEP_4) | instskip(NEXT) | instid1(VALU_DEP_4)
	v_mul_f32_e32 v43, 0x3fb8aa3b, v4
	v_mul_f32_e32 v45, 0x3fb8aa3b, v9
	v_cmp_ngt_f32_e32 vcc_lo, 0xc2ce8ed0, v4
	s_delay_alu instid0(VALU_DEP_4)
	v_rndne_f32_e32 v68, v47
	v_mul_f32_e32 v44, 0x3fb8aa3b, v8
	v_fma_f32 v59, 0x3fb8aa3b, v4, -v43
	v_sub_f32_e32 v40, v21, v1
	v_rndne_f32_e32 v60, v43
	v_fma_f32 v67, 0x3fb8aa3b, v11, -v47
	v_rndne_f32_e32 v62, v44
	v_dual_fmac_f32 v59, 0x32a5705f, v4 :: v_dual_sub_f32 v14, v26, v1
	v_mul_f32_e32 v55, 0x3fb8aa3b, v40
	v_sub_f32_e32 v39, v22, v1
	v_fma_f32 v61, 0x3fb8aa3b, v8, -v44
	v_dual_sub_f32 v44, v44, v62 :: v_dual_sub_f32 v15, v25, v1
	v_sub_f32_e32 v42, v19, v1
	v_mul_f32_e32 v50, 0x3fb8aa3b, v14
	s_delay_alu instid0(VALU_DEP_4) | instskip(SKIP_4) | instid1(VALU_DEP_3)
	v_fmac_f32_e32 v61, 0x32a5705f, v8
	v_mul_f32_e32 v54, 0x3fb8aa3b, v39
	v_dual_sub_f32 v10, v30, v1 :: v_dual_mul_f32 v51, 0x3fb8aa3b, v15
	v_dual_sub_f32 v38, v23, v1 :: v_dual_mul_f32 v57, 0x3fb8aa3b, v42
	v_sub_f32_e32 v12, v28, v1
	v_mul_f32_e32 v46, 0x3fb8aa3b, v10
	v_rndne_f32_e32 v74, v50
	s_delay_alu instid0(VALU_DEP_4)
	v_mul_f32_e32 v53, 0x3fb8aa3b, v38
	v_sub_f32_e32 v41, v20, v1
	v_dual_sub_f32 v13, v27, v1 :: v_dual_mul_f32 v48, 0x3fb8aa3b, v12
	v_rndne_f32_e32 v66, v46
	v_fma_f32 v73, 0x3fb8aa3b, v14, -v50
	v_dual_sub_f32 v43, v43, v60 :: v_dual_sub_f32 v50, v50, v74
	v_mul_f32_e32 v56, 0x3fb8aa3b, v41
	v_fma_f32 v65, 0x3fb8aa3b, v10, -v46
	v_rndne_f32_e32 v70, v48
	v_sub_f32_e32 v1, v18, v1
	v_sub_f32_e32 v46, v46, v66
	v_fma_f32 v77, 0x3fb8aa3b, v37, -v52
	v_sub_f32_e32 v52, v52, v78
	v_fma_f32 v63, 0x3fb8aa3b, v9, -v45
	v_rndne_f32_e32 v64, v45
	v_add_f32_e32 v43, v43, v59
	v_fma_f32 v69, 0x3fb8aa3b, v12, -v48
	v_rndne_f32_e32 v86, v56
	v_fmac_f32_e32 v63, 0x32a5705f, v9
	v_sub_f32_e32 v45, v45, v64
	v_dual_fmac_f32 v65, 0x32a5705f, v10 :: v_dual_add_f32 v44, v44, v61
	v_sub_f32_e32 v48, v48, v70
	v_mul_f32_e32 v58, 0x3fb8aa3b, v1
	v_exp_f32_e32 v43, v43
	v_fma_f32 v85, 0x3fb8aa3b, v41, -v56
	v_cvt_i32_f32_e32 v60, v60
	v_dual_sub_f32 v56, v56, v86 :: v_dual_add_f32 v45, v45, v63
	v_exp_f32_e32 v44, v44
	v_rndne_f32_e32 v82, v54
	v_mul_f32_e32 v49, 0x3fb8aa3b, v13
	v_cvt_i32_f32_e32 v62, v62
	v_exp_f32_e32 v45, v45
	s_delay_alu instid0(TRANS32_DEP_3)
	v_ldexp_f32 v43, v43, v60
	v_fma_f32 v81, 0x3fb8aa3b, v39, -v54
	v_sub_f32_e32 v54, v54, v82
	v_fma_f32 v71, 0x3fb8aa3b, v13, -v49
	v_cvt_i32_f32_e32 v64, v64
	v_ldexp_f32 v44, v44, v62
	v_cndmask_b32_e32 v43, 0, v43, vcc_lo
	v_cmp_ngt_f32_e32 vcc_lo, 0xc2ce8ed0, v8
	v_fmac_f32_e32 v71, 0x32a5705f, v13
	v_ldexp_f32 v45, v45, v64
	v_rndne_f32_e32 v80, v53
	v_dual_sub_f32 v47, v47, v68 :: v_dual_add_f32 v46, v46, v65
	v_cndmask_b32_e32 v44, 0, v44, vcc_lo
	v_cmp_ngt_f32_e32 vcc_lo, 0xc2ce8ed0, v9
	v_fma_f32 v79, 0x3fb8aa3b, v38, -v53
	v_rndne_f32_e32 v90, v58
	v_fmac_f32_e32 v67, 0x32a5705f, v11
	v_exp_f32_e32 v46, v46
	v_cndmask_b32_e32 v45, 0, v45, vcc_lo
	v_cmp_nlt_f32_e32 vcc_lo, 0x42b17218, v4
	v_sub_f32_e32 v53, v53, v80
	v_fma_f32 v89, 0x3fb8aa3b, v1, -v58
	v_cvt_i32_f32_e32 v66, v66
	v_sub_f32_e32 v58, v58, v90
	v_cndmask_b32_e32 v4, 0x7f800000, v43, vcc_lo
	v_cmp_nlt_f32_e32 vcc_lo, 0x42b17218, v8
	v_add_f32_e32 v47, v47, v67
	v_rndne_f32_e32 v72, v49
	v_ldexp_f32 v46, v46, v66
	v_cvt_i32_f32_e32 v68, v68
	v_cndmask_b32_e32 v8, 0x7f800000, v44, vcc_lo
	v_fmac_f32_e32 v77, 0x32a5705f, v37
	v_exp_f32_e32 v47, v47
	v_cmp_ngt_f32_e32 vcc_lo, 0xc2ce8ed0, v10
	v_rndne_f32_e32 v84, v55
	v_dual_add_f32 v44, v4, v8 :: v_dual_fmac_f32 v73, 0x32a5705f, v14
	v_dual_add_f32 v52, v52, v77 :: v_dual_fmac_f32 v69, 0x32a5705f, v12
	v_cndmask_b32_e32 v43, 0, v46, vcc_lo
	v_cmp_nlt_f32_e32 vcc_lo, 0x42b17218, v9
	s_delay_alu instid0(VALU_DEP_4) | instskip(NEXT) | instid1(VALU_DEP_4)
	v_dual_add_f32 v50, v50, v73 :: v_dual_sub_f32 v49, v49, v72
	v_add_f32_e32 v48, v48, v69
	s_delay_alu instid0(TRANS32_DEP_1)
	v_ldexp_f32 v47, v47, v68
	v_cndmask_b32_e32 v9, 0x7f800000, v45, vcc_lo
	v_cmp_ngt_f32_e32 vcc_lo, 0xc2ce8ed0, v11
	v_cvt_i32_f32_e32 v70, v70
	v_exp_f32_e32 v48, v48
	v_add_f32_e32 v49, v49, v71
	v_fma_f32 v83, 0x3fb8aa3b, v40, -v55
	v_cndmask_b32_e32 v45, 0, v47, vcc_lo
	v_cmp_nlt_f32_e32 vcc_lo, 0x42b17218, v10
	v_sub_f32_e32 v55, v55, v84
	v_exp_f32_e32 v49, v49
	v_exp_f32_e32 v52, v52
	v_fma_f32 v75, 0x3fb8aa3b, v15, -v51
	v_cndmask_b32_e32 v10, 0x7f800000, v43, vcc_lo
	v_ldexp_f32 v48, v48, v70
	v_cmp_ngt_f32_e32 vcc_lo, 0xc2ce8ed0, v12
	v_rndne_f32_e32 v76, v51
	v_cvt_i32_f32_e32 v72, v72
	v_cvt_i32_f32_e32 v78, v78
	v_fmac_f32_e32 v81, 0x32a5705f, v39
	v_add_f32_e32 v43, v9, v44
	v_cndmask_b32_e32 v44, 0, v48, vcc_lo
	v_cmp_nlt_f32_e32 vcc_lo, 0x42b17218, v11
	s_delay_alu instid0(VALU_DEP_4)
	v_dual_fmac_f32 v75, 0x32a5705f, v15 :: v_dual_add_f32 v54, v54, v81
	v_exp_f32_e32 v50, v50
	v_ldexp_f32 v49, v49, v72
	v_ldexp_f32 v52, v52, v78
	v_fmac_f32_e32 v85, 0x32a5705f, v41
	v_sub_f32_e32 v51, v51, v76
	v_cndmask_b32_e32 v11, 0x7f800000, v45, vcc_lo
	v_cmp_ngt_f32_e32 vcc_lo, 0xc2ce8ed0, v13
	v_cvt_i32_f32_e32 v74, v74
	s_delay_alu instid0(VALU_DEP_4)
	v_dual_add_f32 v56, v56, v85 :: v_dual_add_f32 v51, v51, v75
	v_cvt_i32_f32_e32 v76, v76
	v_cndmask_b32_e32 v45, 0, v49, vcc_lo
	v_cmp_nlt_f32_e32 vcc_lo, 0x42b17218, v12
	v_ldexp_f32 v50, v50, v74
	v_exp_f32_e32 v51, v51
	v_fmac_f32_e32 v89, 0x32a5705f, v1
	v_fmac_f32_e32 v79, 0x32a5705f, v38
	v_cndmask_b32_e32 v12, 0x7f800000, v44, vcc_lo
	v_cmp_ngt_f32_e32 vcc_lo, 0xc2ce8ed0, v14
	s_delay_alu instid0(VALU_DEP_4) | instskip(NEXT) | instid1(VALU_DEP_4)
	v_dual_fmac_f32 v83, 0x32a5705f, v40 :: v_dual_add_f32 v58, v58, v89
	v_add_f32_e32 v53, v53, v79
	v_cvt_i32_f32_e32 v80, v80
	v_cndmask_b32_e32 v44, 0, v50, vcc_lo
	v_cmp_nlt_f32_e32 vcc_lo, 0x42b17218, v13
	v_ldexp_f32 v51, v51, v76
	v_exp_f32_e32 v53, v53
	v_exp_f32_e32 v54, v54
	v_cvt_i32_f32_e32 v82, v82
	v_cndmask_b32_e32 v13, 0x7f800000, v45, vcc_lo
	v_cmp_ngt_f32_e32 vcc_lo, 0xc2ce8ed0, v15
	v_add_f32_e32 v55, v55, v83
	v_rndne_f32_e32 v88, v57
	v_fma_f32 v87, 0x3fb8aa3b, v42, -v57
	v_cvt_i32_f32_e32 v84, v84
	v_cndmask_b32_e32 v45, 0, v51, vcc_lo
	v_cmp_nlt_f32_e32 vcc_lo, 0x42b17218, v14
	v_ldexp_f32 v53, v53, v80
	v_exp_f32_e32 v55, v55
	v_ldexp_f32 v54, v54, v82
	v_exp_f32_e32 v56, v56
	v_cndmask_b32_e32 v14, 0x7f800000, v44, vcc_lo
	v_cmp_ngt_f32_e32 vcc_lo, 0xc2ce8ed0, v37
	v_add_f32_e32 v43, v10, v43
	v_cvt_i32_f32_e32 v86, v86
	v_exp_f32_e32 v58, v58
	v_cvt_i32_f32_e32 v90, v90
	v_cndmask_b32_e32 v44, 0, v52, vcc_lo
	v_cmp_nlt_f32_e32 vcc_lo, 0x42b17218, v15
	v_ldexp_f32 v55, v55, v84
	v_add_f32_e32 v43, v11, v43
	v_ldexp_f32 v56, v56, v86
	v_cndmask_b32_e32 v15, 0x7f800000, v45, vcc_lo
	v_cmp_ngt_f32_e32 vcc_lo, 0xc2ce8ed0, v38
	s_delay_alu instid0(VALU_DEP_4) | instskip(SKIP_3) | instid1(VALU_DEP_4)
	v_add_f32_e32 v43, v12, v43
	v_ldexp_f32 v58, v58, v90
	v_cndmask_b32_e32 v45, 0, v53, vcc_lo
	v_cmp_nlt_f32_e32 vcc_lo, 0x42b17218, v37
	v_add_f32_e32 v43, v13, v43
	v_cndmask_b32_e32 v37, 0x7f800000, v44, vcc_lo
	v_cmp_ngt_f32_e32 vcc_lo, 0xc2ce8ed0, v39
	v_sub_f32_e32 v57, v57, v88
	s_delay_alu instid0(VALU_DEP_4) | instskip(SKIP_3) | instid1(VALU_DEP_4)
	v_add_f32_e32 v43, v14, v43
	v_cvt_i32_f32_e32 v88, v88
	v_cndmask_b32_e32 v44, 0, v54, vcc_lo
	v_cmp_nlt_f32_e32 vcc_lo, 0x42b17218, v38
	v_dual_add_f32 v43, v15, v43 :: v_dual_cndmask_b32 v38, 0x7f800000, v45
	v_cmp_ngt_f32_e32 vcc_lo, 0xc2ce8ed0, v40
	s_delay_alu instid0(VALU_DEP_2) | instskip(SKIP_2) | instid1(VALU_DEP_3)
	v_add_f32_e32 v43, v37, v43
	v_cndmask_b32_e32 v45, 0, v55, vcc_lo
	v_cmp_nlt_f32_e32 vcc_lo, 0x42b17218, v39
	v_add_f32_e32 v43, v38, v43
	v_cndmask_b32_e32 v39, 0x7f800000, v44, vcc_lo
	v_cmp_ngt_f32_e32 vcc_lo, 0xc2ce8ed0, v41
	v_fmac_f32_e32 v87, 0x32a5705f, v42
	s_delay_alu instid0(VALU_DEP_3) | instskip(NEXT) | instid1(VALU_DEP_2)
	v_dual_add_f32 v43, v39, v43 :: v_dual_cndmask_b32 v44, 0, v56
	v_add_f32_e32 v57, v57, v87
	v_cmp_nlt_f32_e32 vcc_lo, 0x42b17218, v40
	s_delay_alu instid0(VALU_DEP_2) | instskip(SKIP_2) | instid1(VALU_DEP_2)
	v_exp_f32_e32 v57, v57
	v_cndmask_b32_e32 v40, 0x7f800000, v45, vcc_lo
	v_cmp_ngt_f32_e32 vcc_lo, 0xc2ce8ed0, v42
	v_add_f32_e32 v43, v40, v43
	s_waitcnt_depctr 0xfff
	v_ldexp_f32 v57, v57, v88
	s_delay_alu instid0(VALU_DEP_1) | instskip(SKIP_3) | instid1(VALU_DEP_2)
	v_cndmask_b32_e32 v45, 0, v57, vcc_lo
	v_cmp_nlt_f32_e32 vcc_lo, 0x42b17218, v41
	v_cndmask_b32_e32 v41, 0x7f800000, v44, vcc_lo
	v_cmp_ngt_f32_e32 vcc_lo, 0xc2ce8ed0, v1
	v_dual_add_f32 v43, v41, v43 :: v_dual_cndmask_b32 v44, 0, v58
	v_cmp_nlt_f32_e32 vcc_lo, 0x42b17218, v42
	v_cndmask_b32_e32 v42, 0x7f800000, v45, vcc_lo
	v_cmp_nlt_f32_e32 vcc_lo, 0x42b17218, v1
	s_delay_alu instid0(VALU_DEP_2) | instskip(NEXT) | instid1(VALU_DEP_1)
	v_dual_add_f32 v1, v42, v43 :: v_dual_cndmask_b32 v44, 0x7f800000, v44
	v_add_f32_e32 v1, v44, v1
	ds_bpermute_b32 v3, v3, v1
	s_waitcnt lgkmcnt(0)
	v_add_f32_e32 v1, v1, v3
	ds_bpermute_b32 v3, v5, v1
	s_waitcnt lgkmcnt(0)
	;; [unrolled: 3-line block ×5, first 2 shown]
	v_add_f32_e32 v1, v1, v2
	s_delay_alu instid0(VALU_DEP_1) | instskip(SKIP_1) | instid1(VALU_DEP_2)
	v_div_scale_f32 v2, null, v1, v1, 1.0
	v_div_scale_f32 v6, vcc_lo, 1.0, v1, 1.0
	v_rcp_f32_e32 v3, v2
	s_waitcnt_depctr 0xfff
	v_fma_f32 v5, -v2, v3, 1.0
	s_delay_alu instid0(VALU_DEP_1) | instskip(NEXT) | instid1(VALU_DEP_1)
	v_fmac_f32_e32 v3, v5, v3
	v_mul_f32_e32 v5, v6, v3
	s_delay_alu instid0(VALU_DEP_1) | instskip(NEXT) | instid1(VALU_DEP_1)
	v_fma_f32 v7, -v2, v5, v6
	v_fmac_f32_e32 v5, v7, v3
	s_delay_alu instid0(VALU_DEP_1) | instskip(NEXT) | instid1(VALU_DEP_1)
	v_fma_f32 v2, -v2, v5, v6
	v_div_fmas_f32 v2, v2, v3, v5
	s_delay_alu instid0(VALU_DEP_1) | instskip(NEXT) | instid1(VALU_DEP_1)
	v_div_fixup_f32 v43, v2, v1, 1.0
	v_mul_f32_e32 v1, v4, v43
	v_mul_f32_e32 v2, v8, v43
	;; [unrolled: 1-line block ×16, first 2 shown]
	s_cbranch_execz .LBB9_5
	s_branch .LBB9_6
.LBB9_4:
                                        ; implicit-def: $vgpr12
                                        ; implicit-def: $vgpr13
                                        ; implicit-def: $vgpr14
                                        ; implicit-def: $vgpr15
                                        ; implicit-def: $vgpr37
                                        ; implicit-def: $vgpr9
                                        ; implicit-def: $vgpr10
                                        ; implicit-def: $vgpr11
                                        ; implicit-def: $vgpr8
                                        ; implicit-def: $vgpr7
                                        ; implicit-def: $vgpr6
                                        ; implicit-def: $vgpr4
                                        ; implicit-def: $vgpr5
                                        ; implicit-def: $vgpr3
                                        ; implicit-def: $vgpr2
                                        ; implicit-def: $vgpr1
.LBB9_5:
	s_waitcnt vmcnt(14)
	v_dual_mul_f32 v1, 0xbfb8aa3b, v34 :: v_dual_mul_f32 v2, 0xbfb8aa3b, v33
	s_waitcnt vmcnt(12)
	v_dual_mul_f32 v5, 0xbfb8aa3b, v31 :: v_dual_mul_f32 v8, 0xbfb8aa3b, v30
	v_cmp_nlt_f32_e32 vcc_lo, 0x42ce8ed0, v34
	s_delay_alu instid0(VALU_DEP_3) | instskip(SKIP_4) | instid1(VALU_DEP_4)
	v_rndne_f32_e32 v3, v1
	v_fma_f32 v4, 0xbfb8aa3b, v34, -v1
	v_rndne_f32_e32 v6, v2
	v_fma_f32 v7, 0xbfb8aa3b, v33, -v2
	v_fma_f32 v10, 0xbfb8aa3b, v31, -v5
	v_dual_sub_f32 v1, v1, v3 :: v_dual_fmac_f32 v4, 0xb2a5705f, v34
	s_delay_alu instid0(VALU_DEP_3) | instskip(SKIP_2) | instid1(VALU_DEP_3)
	v_dual_sub_f32 v2, v2, v6 :: v_dual_fmac_f32 v7, 0xb2a5705f, v33
	s_waitcnt vmcnt(11)
	v_mul_f32_e32 v9, 0xbfb8aa3b, v29
	v_dual_fmac_f32 v10, 0xb2a5705f, v31 :: v_dual_add_f32 v1, v1, v4
	v_cvt_i32_f32_e32 v3, v3
	v_add_f32_e32 v2, v2, v7
	v_cvt_i32_f32_e32 v6, v6
	v_rndne_f32_e32 v4, v5
	v_exp_f32_e32 v1, v1
	v_rndne_f32_e32 v7, v8
	v_exp_f32_e32 v2, v2
	v_fma_f32 v11, 0xbfb8aa3b, v30, -v8
	v_rndne_f32_e32 v12, v9
	v_fma_f32 v13, 0xbfb8aa3b, v29, -v9
	v_dual_sub_f32 v5, v5, v4 :: v_dual_sub_f32 v8, v8, v7
	s_delay_alu instid0(VALU_DEP_4) | instskip(SKIP_1) | instid1(TRANS32_DEP_2)
	v_fmac_f32_e32 v11, 0xb2a5705f, v30
	v_cvt_i32_f32_e32 v4, v4
	v_ldexp_f32 v1, v1, v3
	v_fmac_f32_e32 v13, 0xb2a5705f, v29
	s_delay_alu instid0(TRANS32_DEP_1)
	v_ldexp_f32 v2, v2, v6
	v_add_f32_e32 v3, v5, v10
	v_cvt_i32_f32_e32 v6, v7
	v_cndmask_b32_e32 v1, 0, v1, vcc_lo
	v_cmp_nlt_f32_e32 vcc_lo, 0x42ce8ed0, v33
	v_cmp_ngt_f32_e64 s1, 0xc2b17218, v30
	v_cndmask_b32_e32 v2, 0, v2, vcc_lo
	v_cmp_ngt_f32_e32 vcc_lo, 0xc2b17218, v34
	v_cndmask_b32_e32 v1, 0x7f800000, v1, vcc_lo
	v_cmp_ngt_f32_e32 vcc_lo, 0xc2b17218, v33
	v_dual_add_f32 v5, v8, v11 :: v_dual_sub_f32 v8, v9, v12
	s_waitcnt vmcnt(10)
	v_mul_f32_e32 v33, 0xbfb8aa3b, v28
	v_cndmask_b32_e32 v2, 0x7f800000, v2, vcc_lo
	s_delay_alu instid0(VALU_DEP_3) | instskip(SKIP_4) | instid1(VALU_DEP_3)
	v_exp_f32_e32 v5, v5
	v_add_f32_e32 v8, v8, v13
	v_exp_f32_e32 v3, v3
	v_cmp_nlt_f32_e32 vcc_lo, 0x42ce8ed0, v31
	v_add_f32_e32 v2, 1.0, v2
	v_exp_f32_e32 v8, v8
	s_delay_alu instid0(TRANS32_DEP_3) | instskip(SKIP_3) | instid1(VALU_DEP_1)
	v_ldexp_f32 v5, v5, v6
	s_waitcnt_depctr 0xfff
	v_ldexp_f32 v3, v3, v4
	v_div_scale_f32 v4, null, v2, v2, 1.0
	v_rcp_f32_e32 v6, v4
	s_waitcnt_depctr 0xfff
	v_fma_f32 v13, -v4, v6, 1.0
	s_delay_alu instid0(VALU_DEP_1) | instskip(NEXT) | instid1(VALU_DEP_1)
	v_dual_add_f32 v1, 1.0, v1 :: v_dual_fmac_f32 v6, v13, v6
	v_div_scale_f32 v7, null, v1, v1, 1.0
	s_delay_alu instid0(VALU_DEP_1) | instskip(SKIP_2) | instid1(VALU_DEP_1)
	v_rcp_f32_e32 v9, v7
	s_waitcnt_depctr 0xfff
	v_fma_f32 v10, -v7, v9, 1.0
	v_fmac_f32_e32 v9, v10, v9
	v_div_scale_f32 v10, s0, 1.0, v2, 1.0
	v_cndmask_b32_e32 v3, 0, v3, vcc_lo
	v_cmp_ngt_f32_e32 vcc_lo, 0xc2b17218, v31
	s_delay_alu instid0(VALU_DEP_2) | instskip(SKIP_2) | instid1(VALU_DEP_1)
	v_cndmask_b32_e32 v3, 0x7f800000, v3, vcc_lo
	v_cmp_nlt_f32_e32 vcc_lo, 0x42ce8ed0, v30
	v_mul_f32_e32 v30, v10, v6
	v_fma_f32 v34, -v4, v30, v10
	s_delay_alu instid0(VALU_DEP_1) | instskip(SKIP_3) | instid1(VALU_DEP_4)
	v_fmac_f32_e32 v30, v34, v6
	v_fma_f32 v34, 0xbfb8aa3b, v28, -v33
	v_cndmask_b32_e32 v5, 0, v5, vcc_lo
	v_div_scale_f32 v11, vcc_lo, 1.0, v1, 1.0
	v_fma_f32 v4, -v4, v30, v10
	s_delay_alu instid0(VALU_DEP_4) | instskip(NEXT) | instid1(VALU_DEP_4)
	v_fmac_f32_e32 v34, 0xb2a5705f, v28
	v_cndmask_b32_e64 v5, 0x7f800000, v5, s1
	s_delay_alu instid0(VALU_DEP_4) | instskip(NEXT) | instid1(VALU_DEP_1)
	v_mul_f32_e32 v13, v11, v9
	v_fma_f32 v31, -v7, v13, v11
	s_delay_alu instid0(VALU_DEP_1) | instskip(NEXT) | instid1(VALU_DEP_1)
	v_fmac_f32_e32 v13, v31, v9
	v_fma_f32 v7, -v7, v13, v11
	v_cvt_i32_f32_e32 v11, v12
	v_rndne_f32_e32 v12, v33
	s_delay_alu instid0(VALU_DEP_3) | instskip(SKIP_1) | instid1(VALU_DEP_2)
	v_div_fmas_f32 v7, v7, v9, v13
	v_cmp_nlt_f32_e32 vcc_lo, 0x42ce8ed0, v29
	v_div_fixup_f32 v1, v7, v1, 1.0
	v_ldexp_f32 v7, v8, v11
	v_dual_sub_f32 v8, v33, v12 :: v_dual_add_f32 v3, 1.0, v3
	v_cvt_i32_f32_e32 v12, v12
	s_delay_alu instid0(VALU_DEP_2) | instskip(SKIP_1) | instid1(VALU_DEP_3)
	v_dual_cndmask_b32 v7, 0, v7 :: v_dual_add_f32 v8, v8, v34
	s_mov_b32 vcc_lo, s0
	v_div_scale_f32 v14, null, v3, v3, 1.0
	v_div_fmas_f32 v4, v4, v6, v30
	s_delay_alu instid0(VALU_DEP_3) | instskip(SKIP_1) | instid1(VALU_DEP_3)
	v_exp_f32_e32 v8, v8
	v_cmp_ngt_f32_e32 vcc_lo, 0xc2b17218, v29
	v_rcp_f32_e32 v15, v14
	v_div_scale_f32 v31, s1, 1.0, v3, 1.0
	v_div_fixup_f32 v2, v4, v2, 1.0
	v_cndmask_b32_e32 v7, 0x7f800000, v7, vcc_lo
	v_cmp_nlt_f32_e32 vcc_lo, 0x42ce8ed0, v28
	s_delay_alu instid0(TRANS32_DEP_2) | instskip(SKIP_4) | instid1(VALU_DEP_2)
	v_ldexp_f32 v8, v8, v12
	s_waitcnt_depctr 0xfff
	v_fma_f32 v37, -v14, v15, 1.0
	v_cndmask_b32_e32 v8, 0, v8, vcc_lo
	v_cmp_ngt_f32_e32 vcc_lo, 0xc2b17218, v28
	v_dual_add_f32 v7, 1.0, v7 :: v_dual_cndmask_b32 v8, 0x7f800000, v8
	s_waitcnt vmcnt(9)
	v_cmp_nlt_f32_e32 vcc_lo, 0x42ce8ed0, v27
	v_mul_f32_e32 v13, 0xbfb8aa3b, v27
	s_delay_alu instid0(VALU_DEP_3) | instskip(SKIP_1) | instid1(VALU_DEP_3)
	v_div_scale_f32 v33, null, v7, v7, 1.0
	v_add_f32_e32 v8, 1.0, v8
	v_rndne_f32_e32 v29, v13
	v_fma_f32 v30, 0xbfb8aa3b, v27, -v13
	v_add_f32_e32 v5, 1.0, v5
	s_delay_alu instid0(VALU_DEP_3) | instskip(NEXT) | instid1(VALU_DEP_3)
	v_sub_f32_e32 v12, v13, v29
	v_fmac_f32_e32 v30, 0xb2a5705f, v27
	s_delay_alu instid0(VALU_DEP_3) | instskip(SKIP_2) | instid1(VALU_DEP_4)
	v_div_scale_f32 v9, null, v5, v5, 1.0
	v_fmac_f32_e32 v15, v37, v15
	v_cvt_i32_f32_e32 v29, v29
	v_add_f32_e32 v12, v12, v30
	s_delay_alu instid0(VALU_DEP_4) | instskip(SKIP_2) | instid1(VALU_DEP_3)
	v_rcp_f32_e32 v11, v9
	v_div_scale_f32 v13, s0, 1.0, v5, 1.0
	v_mul_f32_e32 v10, v31, v15
	v_exp_f32_e32 v4, v12
	s_delay_alu instid0(VALU_DEP_1) | instskip(NEXT) | instid1(VALU_DEP_1)
	v_fma_f32 v6, -v14, v10, v31
	v_fmac_f32_e32 v10, v6, v15
	s_waitcnt_depctr 0xfff
	v_fma_f32 v6, -v9, v11, 1.0
	v_ldexp_f32 v4, v4, v29
	v_fma_f32 v14, -v14, v10, v31
	s_delay_alu instid0(VALU_DEP_3) | instskip(SKIP_1) | instid1(VALU_DEP_3)
	v_fmac_f32_e32 v11, v6, v11
	v_rcp_f32_e32 v6, v33
	v_cndmask_b32_e32 v4, 0, v4, vcc_lo
	s_mov_b32 vcc_lo, s1
	v_div_scale_f32 v31, null, v8, v8, 1.0
	v_div_fmas_f32 v10, v14, v15, v10
	v_cmp_ngt_f32_e32 vcc_lo, 0xc2b17218, v27
	s_delay_alu instid0(VALU_DEP_3)
	v_rcp_f32_e32 v29, v31
	s_waitcnt_depctr 0xfff
	v_fma_f32 v28, -v33, v6, 1.0
	v_cndmask_b32_e32 v4, 0x7f800000, v4, vcc_lo
	v_div_fixup_f32 v3, v10, v3, 1.0
	s_mov_b32 vcc_lo, s0
	s_delay_alu instid0(VALU_DEP_3) | instskip(SKIP_2) | instid1(VALU_DEP_2)
	v_fmac_f32_e32 v6, v28, v6
	v_div_scale_f32 v28, s2, 1.0, v7, 1.0
	v_fma_f32 v15, -v31, v29, 1.0
	v_mul_f32_e32 v14, v28, v6
	s_delay_alu instid0(VALU_DEP_2) | instskip(NEXT) | instid1(VALU_DEP_2)
	v_dual_mul_f32 v12, v13, v11 :: v_dual_fmac_f32 v29, v15, v29
	v_fma_f32 v10, -v33, v14, v28
	s_delay_alu instid0(VALU_DEP_2) | instskip(NEXT) | instid1(VALU_DEP_2)
	v_fma_f32 v30, -v9, v12, v13
	v_fmac_f32_e32 v14, v10, v6
	s_delay_alu instid0(VALU_DEP_2) | instskip(SKIP_1) | instid1(VALU_DEP_2)
	v_fmac_f32_e32 v12, v30, v11
	v_div_scale_f32 v30, s1, 1.0, v8, 1.0
	v_fma_f32 v9, -v9, v12, v13
	s_waitcnt vmcnt(8)
	v_dual_add_f32 v13, 1.0, v4 :: v_dual_mul_f32 v4, 0xbfb8aa3b, v26
	s_delay_alu instid0(VALU_DEP_2) | instskip(NEXT) | instid1(VALU_DEP_2)
	v_div_fmas_f32 v9, v9, v11, v12
	v_div_scale_f32 v10, null, v13, v13, 1.0
	s_delay_alu instid0(VALU_DEP_3) | instskip(SKIP_4) | instid1(VALU_DEP_2)
	v_rndne_f32_e32 v15, v4
	v_fma_f32 v27, 0xbfb8aa3b, v26, -v4
	v_fma_f32 v11, -v33, v14, v28
	s_mov_b32 vcc_lo, s2
	v_rcp_f32_e32 v34, v10
	v_dual_sub_f32 v4, v4, v15 :: v_dual_fmac_f32 v27, 0xb2a5705f, v26
	s_delay_alu instid0(VALU_DEP_2) | instskip(SKIP_2) | instid1(VALU_DEP_4)
	v_div_fmas_f32 v6, v11, v6, v14
	v_div_fixup_f32 v5, v9, v5, 1.0
	v_div_scale_f32 v9, s0, 1.0, v13, 1.0
	v_add_f32_e32 v4, v4, v27
	v_cmp_nlt_f32_e32 vcc_lo, 0x42ce8ed0, v26
	s_delay_alu instid0(TRANS32_DEP_1) | instskip(NEXT) | instid1(VALU_DEP_3)
	v_fma_f32 v14, -v10, v34, 1.0
	v_exp_f32_e32 v27, v4
	v_div_fixup_f32 v4, v6, v7, 1.0
	s_waitcnt vmcnt(7)
	v_mul_f32_e32 v7, 0xbfb8aa3b, v25
	v_cvt_i32_f32_e32 v6, v15
	s_delay_alu instid0(VALU_DEP_2) | instskip(SKIP_4) | instid1(VALU_DEP_1)
	v_fma_f32 v15, 0xbfb8aa3b, v25, -v7
	s_waitcnt_depctr 0xfff
	v_ldexp_f32 v6, v27, v6
	v_dual_fmac_f32 v15, 0xb2a5705f, v25 :: v_dual_fmac_f32 v34, v14, v34
	v_rndne_f32_e32 v14, v7
	v_dual_mul_f32 v12, v30, v29 :: v_dual_sub_f32 v7, v7, v14
	s_delay_alu instid0(VALU_DEP_1) | instskip(SKIP_1) | instid1(VALU_DEP_3)
	v_fma_f32 v11, -v31, v12, v30
	v_cvt_i32_f32_e32 v14, v14
	v_add_f32_e32 v7, v7, v15
	v_mul_f32_e32 v27, v9, v34
	s_waitcnt vmcnt(6)
	v_dual_mul_f32 v15, 0xbfb8aa3b, v24 :: v_dual_cndmask_b32 v6, 0, v6
	s_mov_b32 vcc_lo, s1
	v_exp_f32_e32 v7, v7
	s_waitcnt_depctr 0xfff
	v_ldexp_f32 v7, v7, v14
	v_fmac_f32_e32 v12, v11, v29
	s_delay_alu instid0(VALU_DEP_1) | instskip(NEXT) | instid1(VALU_DEP_1)
	v_fma_f32 v11, -v31, v12, v30
	v_div_fmas_f32 v11, v11, v29, v12
	v_cmp_ngt_f32_e32 vcc_lo, 0xc2b17218, v26
	v_fma_f32 v12, -v10, v27, v9
	v_cndmask_b32_e32 v26, 0x7f800000, v6, vcc_lo
	v_cmp_nlt_f32_e32 vcc_lo, 0x42ce8ed0, v25
	s_delay_alu instid0(VALU_DEP_3)
	v_fmac_f32_e32 v27, v12, v34
	v_div_fixup_f32 v6, v11, v8, 1.0
	v_rndne_f32_e32 v11, v15
	v_fma_f32 v12, 0xbfb8aa3b, v24, -v15
	v_cndmask_b32_e32 v7, 0, v7, vcc_lo
	v_cmp_ngt_f32_e32 vcc_lo, 0xc2b17218, v25
	v_add_f32_e32 v8, 1.0, v26
	s_waitcnt vmcnt(5)
	v_mul_f32_e32 v26, 0xbfb8aa3b, v23
	v_fma_f32 v9, -v10, v27, v9
	v_sub_f32_e32 v15, v15, v11
	v_cndmask_b32_e32 v7, 0x7f800000, v7, vcc_lo
	s_mov_b32 vcc_lo, s0
	v_div_scale_f32 v28, null, v8, v8, 1.0
	v_div_fmas_f32 v9, v9, v34, v27
	v_cmp_nlt_f32_e32 vcc_lo, 0x42ce8ed0, v24
	v_fmac_f32_e32 v12, 0xb2a5705f, v24
	v_rndne_f32_e32 v29, v26
	v_fma_f32 v30, 0xbfb8aa3b, v23, -v26
	v_rcp_f32_e32 v31, v28
	v_cvt_i32_f32_e32 v11, v11
	v_add_f32_e32 v12, v15, v12
	v_sub_f32_e32 v14, v26, v29
	v_fmac_f32_e32 v30, 0xb2a5705f, v23
	v_cmp_ngt_f32_e64 s0, 0xc2b17218, v23
	s_delay_alu instid0(VALU_DEP_4) | instskip(NEXT) | instid1(VALU_DEP_2)
	v_exp_f32_e32 v10, v12
	v_add_f32_e32 v12, v14, v30
	s_delay_alu instid0(TRANS32_DEP_2) | instskip(NEXT) | instid1(VALU_DEP_2)
	v_fma_f32 v14, -v28, v31, 1.0
	v_exp_f32_e32 v12, v12
	s_delay_alu instid0(VALU_DEP_1)
	v_fmac_f32_e32 v31, v14, v31
	v_add_f32_e32 v14, 1.0, v7
	s_waitcnt_depctr 0xfff
	v_ldexp_f32 v10, v10, v11
	v_cvt_i32_f32_e32 v11, v29
	s_waitcnt vmcnt(4)
	v_mul_f32_e32 v29, 0xbfb8aa3b, v22
	s_delay_alu instid0(VALU_DEP_3) | instskip(SKIP_2) | instid1(VALU_DEP_4)
	v_cndmask_b32_e32 v7, 0, v10, vcc_lo
	v_cmp_ngt_f32_e32 vcc_lo, 0xc2b17218, v24
	v_ldexp_f32 v10, v12, v11
	v_rndne_f32_e32 v33, v29
	v_fma_f32 v34, 0xbfb8aa3b, v22, -v29
	v_div_scale_f32 v11, null, v14, v14, 1.0
	v_cndmask_b32_e32 v7, 0x7f800000, v7, vcc_lo
	v_cmp_nlt_f32_e32 vcc_lo, 0x42ce8ed0, v23
	s_delay_alu instid0(VALU_DEP_4) | instskip(NEXT) | instid1(VALU_DEP_4)
	v_dual_sub_f32 v29, v29, v33 :: v_dual_fmac_f32 v34, 0xb2a5705f, v22
	v_rcp_f32_e32 v15, v11
	s_delay_alu instid0(VALU_DEP_3) | instskip(SKIP_4) | instid1(VALU_DEP_4)
	v_add_f32_e32 v24, 1.0, v7
	v_cndmask_b32_e32 v10, 0, v10, vcc_lo
	v_div_fixup_f32 v7, v9, v13, 1.0
	v_div_scale_f32 v12, vcc_lo, 1.0, v8, 1.0
	v_add_f32_e32 v29, v29, v34
	v_cndmask_b32_e64 v10, 0x7f800000, v10, s0
	v_div_scale_f32 v25, null, v24, v24, 1.0
	s_delay_alu instid0(VALU_DEP_4) | instskip(NEXT) | instid1(TRANS32_DEP_1)
	v_mul_f32_e32 v23, v12, v31
	v_fma_f32 v13, -v11, v15, 1.0
	s_delay_alu instid0(VALU_DEP_4) | instskip(NEXT) | instid1(VALU_DEP_4)
	v_add_f32_e32 v9, 1.0, v10
	v_rcp_f32_e32 v26, v25
	v_exp_f32_e32 v29, v29
	v_fma_f32 v10, -v28, v23, v12
	v_fmac_f32_e32 v15, v13, v15
	v_div_scale_f32 v27, null, v9, v9, 1.0
	v_div_scale_f32 v13, s0, 1.0, v14, 1.0
	s_delay_alu instid0(VALU_DEP_2) | instskip(NEXT) | instid1(TRANS32_DEP_3)
	v_rcp_f32_e32 v30, v27
	v_fma_f32 v37, -v25, v26, 1.0
	s_delay_alu instid0(VALU_DEP_1) | instskip(NEXT) | instid1(VALU_DEP_1)
	v_dual_fmac_f32 v23, v10, v31 :: v_dual_fmac_f32 v26, v37, v26
	v_fma_f32 v12, -v28, v23, v12
	v_div_scale_f32 v37, s1, 1.0, v24, 1.0
	s_waitcnt_depctr 0xfff
	v_fma_f32 v38, -v27, v30, 1.0
	v_div_fmas_f32 v12, v12, v31, v23
	v_mul_f32_e32 v34, v37, v26
	v_cvt_i32_f32_e32 v23, v33
	s_delay_alu instid0(VALU_DEP_4) | instskip(SKIP_4) | instid1(VALU_DEP_4)
	v_fmac_f32_e32 v30, v38, v30
	v_div_scale_f32 v38, s2, 1.0, v9, 1.0
	v_mul_f32_e32 v10, v13, v15
	v_div_fixup_f32 v8, v12, v8, 1.0
	v_ldexp_f32 v12, v29, v23
	v_mul_f32_e32 v31, v38, v30
	v_cmp_nlt_f32_e32 vcc_lo, 0x42ce8ed0, v22
	v_fma_f32 v28, -v11, v10, v13
	s_delay_alu instid0(VALU_DEP_1) | instskip(NEXT) | instid1(VALU_DEP_1)
	v_fmac_f32_e32 v10, v28, v15
	v_fma_f32 v11, -v11, v10, v13
	v_fma_f32 v13, -v27, v31, v38
	s_delay_alu instid0(VALU_DEP_1)
	v_fmac_f32_e32 v31, v13, v30
	s_waitcnt vmcnt(3)
	v_mul_f32_e32 v13, 0xbfb8aa3b, v21
	v_fma_f32 v28, -v25, v34, v37
	v_cndmask_b32_e32 v12, 0, v12, vcc_lo
	s_mov_b32 vcc_lo, s0
	v_fma_f32 v23, -v27, v31, v38
	v_div_fmas_f32 v10, v11, v15, v10
	s_waitcnt vmcnt(2)
	v_dual_fmac_f32 v34, v28, v26 :: v_dual_mul_f32 v27, 0xbfb8aa3b, v20
	v_cmp_ngt_f32_e32 vcc_lo, 0xc2b17218, v22
	v_rndne_f32_e32 v22, v13
	s_delay_alu instid0(VALU_DEP_3) | instskip(SKIP_2) | instid1(VALU_DEP_2)
	v_fma_f32 v11, -v25, v34, v37
	v_cndmask_b32_e32 v12, 0x7f800000, v12, vcc_lo
	s_mov_b32 vcc_lo, s1
	v_div_fmas_f32 v15, v11, v26, v34
	v_fma_f32 v11, 0xbfb8aa3b, v21, -v13
	v_sub_f32_e32 v13, v13, v22
	s_mov_b32 vcc_lo, s2
	v_cvt_i32_f32_e32 v22, v22
	s_delay_alu instid0(VALU_DEP_3) | instskip(NEXT) | instid1(VALU_DEP_1)
	v_fmac_f32_e32 v11, 0xb2a5705f, v21
	v_add_f32_e32 v13, v13, v11
	v_div_fmas_f32 v23, v23, v30, v31
	v_div_fixup_f32 v11, v10, v14, 1.0
	v_rndne_f32_e32 v14, v27
	v_div_fixup_f32 v10, v15, v24, 1.0
	v_exp_f32_e32 v13, v13
	v_div_fixup_f32 v9, v23, v9, 1.0
	v_fma_f32 v15, 0xbfb8aa3b, v20, -v27
	v_dual_sub_f32 v27, v27, v14 :: v_dual_add_f32 v12, 1.0, v12
	s_waitcnt vmcnt(1)
	v_mul_f32_e32 v23, 0xbfb8aa3b, v19
	v_cmp_nlt_f32_e32 vcc_lo, 0x42ce8ed0, v21
	v_cvt_i32_f32_e32 v14, v14
	v_div_scale_f32 v25, null, v12, v12, 1.0
	s_delay_alu instid0(VALU_DEP_4) | instskip(SKIP_2) | instid1(VALU_DEP_4)
	v_rndne_f32_e32 v28, v23
	v_fma_f32 v29, 0xbfb8aa3b, v19, -v23
	v_ldexp_f32 v13, v13, v22
	v_rcp_f32_e32 v26, v25
	s_delay_alu instid0(VALU_DEP_2) | instskip(NEXT) | instid1(VALU_DEP_1)
	v_dual_sub_f32 v22, v23, v28 :: v_dual_fmac_f32 v29, 0xb2a5705f, v19
	v_dual_fmac_f32 v15, 0xb2a5705f, v20 :: v_dual_add_f32 v22, v22, v29
	s_waitcnt vmcnt(0)
	s_delay_alu instid0(VALU_DEP_1)
	v_dual_mul_f32 v30, 0xbfb8aa3b, v18 :: v_dual_add_f32 v15, v27, v15
	s_waitcnt_depctr 0xfff
	v_fma_f32 v24, -v25, v26, 1.0
	v_rndne_f32_e32 v23, v30
	v_fma_f32 v27, 0xbfb8aa3b, v18, -v30
	v_exp_f32_e32 v15, v15
	s_delay_alu instid0(VALU_DEP_3)
	v_fmac_f32_e32 v26, v24, v26
	v_cvt_i32_f32_e32 v24, v28
	v_sub_f32_e32 v29, v30, v23
	v_fmac_f32_e32 v27, 0xb2a5705f, v18
	v_cndmask_b32_e32 v13, 0, v13, vcc_lo
	v_cmp_ngt_f32_e32 vcc_lo, 0xc2b17218, v21
	v_exp_f32_e32 v21, v22
	v_cvt_i32_f32_e32 v23, v23
	v_add_f32_e32 v22, v29, v27
	v_ldexp_f32 v14, v15, v14
	v_cndmask_b32_e32 v13, 0x7f800000, v13, vcc_lo
	v_cmp_nlt_f32_e32 vcc_lo, 0x42ce8ed0, v20
	s_delay_alu instid0(VALU_DEP_4) | instskip(NEXT) | instid1(TRANS32_DEP_2)
	v_exp_f32_e32 v15, v22
	v_ldexp_f32 v21, v21, v24
	v_cndmask_b32_e32 v14, 0, v14, vcc_lo
	v_cmp_nlt_f32_e32 vcc_lo, 0x42ce8ed0, v19
	s_delay_alu instid0(VALU_DEP_3)
	v_cndmask_b32_e32 v21, 0, v21, vcc_lo
	v_cmp_ngt_f32_e32 vcc_lo, 0xc2b17218, v20
	s_waitcnt_depctr 0xfff
	v_ldexp_f32 v15, v15, v23
	v_cndmask_b32_e32 v14, 0x7f800000, v14, vcc_lo
	v_cmp_ngt_f32_e32 vcc_lo, 0xc2b17218, v19
	v_cndmask_b32_e32 v19, 0x7f800000, v21, vcc_lo
	v_cmp_nlt_f32_e32 vcc_lo, 0x42ce8ed0, v18
	s_delay_alu instid0(VALU_DEP_2) | instskip(SKIP_3) | instid1(VALU_DEP_4)
	v_dual_add_f32 v19, 1.0, v19 :: v_dual_add_f32 v14, 1.0, v14
	v_cndmask_b32_e32 v15, 0, v15, vcc_lo
	v_cmp_ngt_f32_e32 vcc_lo, 0xc2b17218, v18
	v_add_f32_e32 v13, 1.0, v13
	v_div_scale_f32 v18, null, v19, v19, 1.0
	v_div_scale_f32 v21, null, v14, v14, 1.0
	s_delay_alu instid0(VALU_DEP_3) | instskip(NEXT) | instid1(VALU_DEP_3)
	v_div_scale_f32 v22, null, v13, v13, 1.0
	v_rcp_f32_e32 v28, v18
	s_delay_alu instid0(VALU_DEP_2) | instskip(NEXT) | instid1(VALU_DEP_1)
	v_rcp_f32_e32 v24, v21
	v_rcp_f32_e32 v20, v22
	s_delay_alu instid0(TRANS32_DEP_3) | instskip(SKIP_3) | instid1(VALU_DEP_2)
	v_fma_f32 v37, -v18, v28, 1.0
	s_waitcnt_depctr 0xfff
	v_fma_f32 v31, -v21, v24, 1.0
	v_fmac_f32_e32 v28, v37, v28
	v_fmac_f32_e32 v24, v31, v24
	v_div_scale_f32 v31, s1, 1.0, v14, 1.0
	v_cndmask_b32_e32 v15, 0x7f800000, v15, vcc_lo
	v_div_scale_f32 v23, vcc_lo, 1.0, v12, 1.0
	s_delay_alu instid0(VALU_DEP_3) | instskip(SKIP_1) | instid1(VALU_DEP_4)
	v_mul_f32_e32 v40, v31, v24
	v_div_scale_f32 v37, s2, 1.0, v19, 1.0
	v_add_f32_e32 v27, 1.0, v15
	v_fma_f32 v15, -v22, v20, 1.0
	v_mul_f32_e32 v29, v23, v26
	s_delay_alu instid0(VALU_DEP_2) | instskip(SKIP_1) | instid1(VALU_DEP_3)
	v_fmac_f32_e32 v20, v15, v20
	v_div_scale_f32 v15, s0, 1.0, v13, 1.0
	v_fma_f32 v34, -v25, v29, v23
	s_delay_alu instid0(VALU_DEP_1) | instskip(NEXT) | instid1(VALU_DEP_1)
	v_dual_mul_f32 v38, v15, v20 :: v_dual_fmac_f32 v29, v34, v26
	v_fma_f32 v34, -v22, v38, v15
	s_delay_alu instid0(VALU_DEP_1) | instskip(SKIP_1) | instid1(VALU_DEP_2)
	v_fmac_f32_e32 v38, v34, v20
	v_div_scale_f32 v30, null, v27, v27, 1.0
	v_fma_f32 v15, -v22, v38, v15
	s_delay_alu instid0(VALU_DEP_2) | instskip(SKIP_2) | instid1(VALU_DEP_1)
	v_rcp_f32_e32 v33, v30
	s_waitcnt_depctr 0xfff
	v_fma_f32 v39, -v30, v33, 1.0
	v_fmac_f32_e32 v33, v39, v33
	v_div_scale_f32 v39, s3, 1.0, v27, 1.0
	s_delay_alu instid0(VALU_DEP_1) | instskip(SKIP_2) | instid1(VALU_DEP_3)
	v_mul_f32_e32 v42, v39, v33
	v_fma_f32 v23, -v25, v29, v23
	v_fma_f32 v25, -v21, v40, v31
	;; [unrolled: 1-line block ×3, first 2 shown]
	v_mul_f32_e32 v41, v37, v28
	s_delay_alu instid0(VALU_DEP_3)
	v_fmac_f32_e32 v40, v25, v24
	v_div_fmas_f32 v23, v23, v26, v29
	s_mov_b32 vcc_lo, s0
	v_fmac_f32_e32 v42, v22, v33
	v_fma_f32 v34, -v18, v41, v37
	v_div_fmas_f32 v15, v15, v20, v38
	v_fma_f32 v20, -v21, v40, v31
	s_mov_b32 vcc_lo, s1
	v_fma_f32 v21, -v30, v42, v39
	v_fmac_f32_e32 v41, v34, v28
	v_div_fixup_f32 v15, v15, v13, 1.0
	v_div_fmas_f32 v20, v20, v24, v40
	s_mov_b32 vcc_lo, s2
	s_delay_alu instid0(VALU_DEP_3) | instskip(SKIP_1) | instid1(VALU_DEP_3)
	v_fma_f32 v18, -v18, v41, v37
	v_div_fixup_f32 v37, v23, v12, 1.0
	v_div_fixup_f32 v14, v20, v14, 1.0
	s_delay_alu instid0(VALU_DEP_3) | instskip(SKIP_2) | instid1(VALU_DEP_2)
	v_div_fmas_f32 v18, v18, v28, v41
	s_mov_b32 vcc_lo, s3
	v_div_fmas_f32 v21, v21, v33, v42
	v_div_fixup_f32 v13, v18, v19, 1.0
	s_delay_alu instid0(VALU_DEP_2)
	v_div_fixup_f32 v12, v21, v27, 1.0
.LBB9_6:
	s_waitcnt vmcnt(14)
	v_dual_mov_b32 v34, v1 :: v_dual_mov_b32 v33, v2
	s_waitcnt vmcnt(12)
	v_dual_mov_b32 v31, v3 :: v_dual_mov_b32 v30, v5
	;; [unrolled: 2-line block ×6, first 2 shown]
	v_dual_mov_b32 v22, v37 :: v_dual_mov_b32 v21, v15
	s_waitcnt vmcnt(0)
	v_dual_mov_b32 v19, v13 :: v_dual_mov_b32 v18, v12
.LBB9_7:
	s_waitcnt vmcnt(16)
	v_lshrrev_b16 v0, 8, v0
	s_cmp_gt_i32 s25, 0
	s_delay_alu instid0(VALU_DEP_1)
	v_readfirstlane_b32 s24, v0
	s_cbranch_scc1 .LBB9_9
; %bb.8:
	s_mov_b32 s0, 0
	s_delay_alu instid0(VALU_DEP_1)
	s_bitcmp1_b32 s24, 0
	s_mov_b32 s1, s0
	s_mov_b32 s2, s0
	;; [unrolled: 1-line block ×15, first 2 shown]
	s_cselect_b32 s17, -1, 0
	s_branch .LBB9_10
.LBB9_9:
	s_mov_b32 s0, -1
                                        ; implicit-def: $sgpr17
.LBB9_10:
	s_delay_alu instid0(SALU_CYCLE_1) | instskip(SKIP_3) | instid1(VALU_DEP_4)
	v_cndmask_b32_e64 v0, 0, 1, s0
	v_add_nc_u32_e32 v49, 0x60, v36
	v_dual_mov_b32 v66, s0 :: v_dual_add_nc_u32 v51, 32, v36
	v_add_nc_u32_e32 v50, 64, v36
	v_cmp_ne_u32_e32 vcc_lo, 1, v0
	v_dual_mov_b32 v0, s0 :: v_dual_mov_b32 v1, s1
	v_dual_mov_b32 v3, s3 :: v_dual_add_nc_u32 v48, 0x80, v36
	v_dual_mov_b32 v2, s2 :: v_dual_add_nc_u32 v47, 0xa0, v36
	;; [unrolled: 1-line block ×12, first 2 shown]
	v_dual_mov_b32 v14, s14 :: v_dual_mov_b32 v15, s15
	v_mbcnt_lo_u32_b32 v52, -1, 0
	s_cbranch_vccnz .LBB9_37
; %bb.11:
	s_clause 0xf
	global_load_b32 v15, v35, s[22:23]
	global_load_b32 v76, v35, s[22:23] offset:128
	global_load_b32 v77, v35, s[22:23] offset:256
	;; [unrolled: 1-line block ×15, first 2 shown]
	s_waitcnt vmcnt(31)
	v_cmp_o_f32_e32 vcc_lo, v34, v34
	v_xor_b32_e32 v1, 16, v52
	v_xor_b32_e32 v2, 8, v52
	;; [unrolled: 1-line block ×3, first 2 shown]
	v_dual_mov_b32 v66, 0 :: v_dual_cndmask_b32 v53, 0xff7fffff, v34
	s_waitcnt vmcnt(30)
	v_cmp_o_f32_e32 vcc_lo, v33, v33
	v_xor_b32_e32 v4, 2, v52
	v_xor_b32_e32 v5, 1, v52
	s_bitcmp1_b32 s24, 0
	s_mov_b32 s8, 0
	v_cndmask_b32_e32 v54, 0xff7fffff, v33, vcc_lo
	s_waitcnt vmcnt(29)
	v_cmp_o_f32_e32 vcc_lo, v31, v31
	s_cselect_b32 s17, -1, 0
	v_dual_mov_b32 v0, 0 :: v_dual_mov_b32 v7, v66
	v_dual_mov_b32 v6, v66 :: v_dual_cndmask_b32 v55, 0xff7fffff, v31
	s_waitcnt vmcnt(28)
	v_cmp_o_f32_e32 vcc_lo, v30, v30
	v_mov_b32_e32 v9, v66
	v_mov_b32_e32 v8, v66
	;; [unrolled: 1-line block ×4, first 2 shown]
	v_cndmask_b32_e32 v56, 0xff7fffff, v30, vcc_lo
	s_waitcnt vmcnt(27)
	v_cmp_o_f32_e32 vcc_lo, v29, v29
	v_mov_b32_e32 v12, v66
	v_mov_b32_e32 v13, v66
	v_dual_mov_b32 v14, v66 :: v_dual_cndmask_b32 v57, 0xff7fffff, v29
	s_waitcnt vmcnt(26)
	v_cmp_o_f32_e32 vcc_lo, v28, v28
	v_cndmask_b32_e32 v58, 0xff7fffff, v28, vcc_lo
	s_waitcnt vmcnt(25)
	v_cmp_o_f32_e32 vcc_lo, v27, v27
	v_cndmask_b32_e32 v59, 0xff7fffff, v27, vcc_lo
	;; [unrolled: 3-line block ×11, first 2 shown]
	v_add_co_u32 v33, vcc_lo, s20, v16
	v_add_co_ci_u32_e32 v34, vcc_lo, s21, v17, vcc_lo
	v_cmp_gt_i32_e32 vcc_lo, 32, v1
	v_cndmask_b32_e32 v16, v52, v1, vcc_lo
	v_cmp_gt_i32_e32 vcc_lo, 32, v2
	v_mov_b32_e32 v1, v66
	v_cndmask_b32_e32 v17, v52, v2, vcc_lo
	v_cmp_gt_i32_e32 vcc_lo, 32, v3
	v_mov_b32_e32 v2, v66
	v_cndmask_b32_e32 v18, v52, v3, vcc_lo
	v_cmp_gt_i32_e32 vcc_lo, 32, v4
	v_mov_b32_e32 v3, v66
	v_cndmask_b32_e32 v19, v52, v4, vcc_lo
	v_cmp_gt_i32_e32 vcc_lo, 32, v5
	s_delay_alu instid0(VALU_DEP_2)
	v_dual_mov_b32 v4, v66 :: v_dual_lshlrev_b32 v73, 2, v19
	v_dual_cndmask_b32 v20, v52, v5 :: v_dual_mov_b32 v5, v66
	v_lshlrev_b32_e32 v70, 2, v16
	v_lshlrev_b32_e32 v71, 2, v17
	s_waitcnt vmcnt(15)
	v_dual_add_f32 v75, v53, v15 :: v_dual_lshlrev_b32 v72, 2, v18
	s_waitcnt vmcnt(13)
	v_dual_add_f32 v77, v55, v77 :: v_dual_lshlrev_b32 v74, 2, v20
	s_waitcnt vmcnt(11)
	v_dual_add_f32 v76, v54, v76 :: v_dual_add_f32 v79, v57, v79
	s_waitcnt vmcnt(9)
	v_dual_add_f32 v78, v56, v78 :: v_dual_add_f32 v81, v59, v81
	;; [unrolled: 2-line block ×5, first 2 shown]
	v_dual_add_f32 v86, v64, v86 :: v_dual_mov_b32 v15, v66
	s_waitcnt vmcnt(1)
	v_dual_add_f32 v88, v67, v88 :: v_dual_add_f32 v89, v68, v89
	s_waitcnt vmcnt(0)
	v_add_f32_e32 v90, v69, v90
	s_branch .LBB9_13
.LBB9_12:                               ;   in Loop: Header=BB9_13 Depth=1
	s_or_b32 exec_lo, exec_lo, s0
	s_and_b32 s1, s8, 31
	s_waitcnt lgkmcnt(0)
	v_dual_mov_b32 v31, v15 :: v_dual_mov_b32 v30, v14
	v_dual_mov_b32 v17, v1 :: v_dual_mov_b32 v16, v0
	v_cmp_eq_u32_e32 vcc_lo, s1, v36
	s_lshr_b32 s0, s8, 5
	v_dual_mov_b32 v29, v13 :: v_dual_mov_b32 v28, v12
	s_mov_b32 m0, s0
	v_dual_mov_b32 v27, v11 :: v_dual_mov_b32 v26, v10
	v_dual_mov_b32 v25, v9 :: v_dual_mov_b32 v24, v8
	;; [unrolled: 1-line block ×5, first 2 shown]
	v_movreld_b32_e32 v16, v91
	v_dual_cndmask_b32 v15, v15, v31 :: v_dual_cndmask_b32 v14, v14, v30
	v_dual_cndmask_b32 v13, v13, v29 :: v_dual_cndmask_b32 v12, v12, v28
	;; [unrolled: 1-line block ×8, first 2 shown]
	v_add_co_u32 v33, vcc_lo, v33, 4
	v_add_co_ci_u32_e32 v34, vcc_lo, 0, v34, vcc_lo
	s_add_i32 s8, s8, 1
	s_delay_alu instid0(SALU_CYCLE_1)
	s_cmp_eq_u32 s25, s8
	s_cbranch_scc1 .LBB9_37
.LBB9_13:                               ; =>This Inner Loop Header: Depth=1
	v_cmp_gt_f32_e32 vcc_lo, v76, v75
	v_dual_cndmask_b32 v16, v53, v54 :: v_dual_cndmask_b32 v17, v75, v76
	s_delay_alu instid0(VALU_DEP_1) | instskip(NEXT) | instid1(VALU_DEP_1)
	v_cmp_gt_f32_e64 s0, v77, v17
	v_cndmask_b32_e64 v17, v17, v77, s0
	s_delay_alu instid0(VALU_DEP_3) | instskip(NEXT) | instid1(VALU_DEP_2)
	v_cndmask_b32_e64 v16, v16, v55, s0
	v_cmp_gt_f32_e64 s1, v78, v17
	s_delay_alu instid0(VALU_DEP_1) | instskip(NEXT) | instid1(VALU_DEP_3)
	v_cndmask_b32_e64 v17, v17, v78, s1
	v_cndmask_b32_e64 v16, v16, v56, s1
	s_delay_alu instid0(VALU_DEP_2) | instskip(NEXT) | instid1(VALU_DEP_1)
	v_cmp_gt_f32_e64 s2, v79, v17
	v_cndmask_b32_e64 v17, v17, v79, s2
	s_delay_alu instid0(VALU_DEP_3) | instskip(NEXT) | instid1(VALU_DEP_2)
	v_cndmask_b32_e64 v16, v16, v57, s2
	v_cmp_gt_f32_e64 s3, v80, v17
	s_delay_alu instid0(VALU_DEP_1) | instskip(NEXT) | instid1(VALU_DEP_3)
	v_cndmask_b32_e64 v17, v17, v80, s3
	v_cndmask_b32_e64 v16, v16, v58, s3
	s_delay_alu instid0(VALU_DEP_2) | instskip(NEXT) | instid1(VALU_DEP_1)
	;; [unrolled: 9-line block ×3, first 2 shown]
	v_cmp_gt_f32_e64 s6, v83, v17
	v_cndmask_b32_e64 v17, v17, v83, s6
	s_delay_alu instid0(VALU_DEP_3) | instskip(NEXT) | instid1(VALU_DEP_2)
	v_cndmask_b32_e64 v16, v16, v61, s6
	v_cmp_gt_f32_e64 s7, v84, v17
	s_delay_alu instid0(VALU_DEP_1) | instskip(SKIP_1) | instid1(VALU_DEP_4)
	v_cndmask_b32_e64 v17, v17, v84, s7
	v_cndmask_b32_e32 v18, v36, v51, vcc_lo
	v_cndmask_b32_e64 v16, v16, v62, s7
	s_delay_alu instid0(VALU_DEP_3) | instskip(SKIP_1) | instid1(VALU_DEP_4)
	v_cmp_gt_f32_e32 vcc_lo, v85, v17
	v_cndmask_b32_e32 v17, v17, v85, vcc_lo
	v_cndmask_b32_e64 v18, v18, v50, s0
	s_delay_alu instid0(VALU_DEP_2) | instskip(NEXT) | instid1(VALU_DEP_2)
	v_cmp_gt_f32_e64 s0, v86, v17
	v_cndmask_b32_e64 v18, v18, v49, s1
	s_delay_alu instid0(VALU_DEP_2) | instskip(NEXT) | instid1(VALU_DEP_2)
	v_cndmask_b32_e64 v17, v17, v86, s0
	v_cndmask_b32_e64 v18, v18, v48, s2
	s_delay_alu instid0(VALU_DEP_2) | instskip(NEXT) | instid1(VALU_DEP_2)
	v_cmp_gt_f32_e64 s1, v87, v17
	v_cndmask_b32_e64 v18, v18, v47, s3
	s_delay_alu instid0(VALU_DEP_2) | instskip(NEXT) | instid1(VALU_DEP_2)
	v_cndmask_b32_e64 v17, v17, v87, s1
	;; [unrolled: 6-line block ×3, first 2 shown]
	v_cndmask_b32_e64 v18, v18, v44, s6
	v_cndmask_b32_e32 v16, v16, v63, vcc_lo
	s_delay_alu instid0(VALU_DEP_2) | instskip(NEXT) | instid1(VALU_DEP_1)
	v_cndmask_b32_e64 v18, v18, v43, s7
	v_cndmask_b32_e32 v18, v18, v42, vcc_lo
	v_cmp_gt_f32_e32 vcc_lo, v89, v17
	s_delay_alu instid0(VALU_DEP_2) | instskip(SKIP_2) | instid1(VALU_DEP_3)
	v_cndmask_b32_e64 v18, v18, v41, s0
	v_cndmask_b32_e32 v17, v17, v89, vcc_lo
	v_cndmask_b32_e64 v16, v16, v64, s0
	v_cndmask_b32_e64 v18, v18, v40, s1
	s_delay_alu instid0(VALU_DEP_3) | instskip(NEXT) | instid1(VALU_DEP_3)
	v_cmp_gt_f32_e64 s0, v90, v17
	v_cndmask_b32_e64 v16, v16, v65, s1
	s_delay_alu instid0(VALU_DEP_3) | instskip(NEXT) | instid1(VALU_DEP_3)
	v_cndmask_b32_e64 v18, v18, v39, s2
	v_cndmask_b32_e64 v17, v17, v90, s0
	s_delay_alu instid0(VALU_DEP_3) | instskip(SKIP_1) | instid1(VALU_DEP_1)
	v_cndmask_b32_e64 v16, v16, v67, s2
	s_mov_b32 s2, exec_lo
	v_cndmask_b32_e32 v16, v16, v68, vcc_lo
	s_delay_alu instid0(VALU_DEP_1)
	v_cndmask_b32_e64 v91, v16, v69, s0
	v_cndmask_b32_e32 v16, v18, v38, vcc_lo
	ds_bpermute_b32 v18, v70, v17
	ds_bpermute_b32 v20, v70, v91
	v_cndmask_b32_e64 v16, v16, v37, s0
	ds_bpermute_b32 v19, v70, v16
	s_waitcnt lgkmcnt(2)
	v_cmp_lt_f32_e64 s1, v17, v18
	v_cmpx_nlt_f32_e32 v17, v18
	s_cbranch_execz .LBB9_15
; %bb.14:                               ;   in Loop: Header=BB9_13 Depth=1
	v_cmp_eq_f32_e32 vcc_lo, v17, v18
	s_waitcnt lgkmcnt(0)
	v_cmp_lt_i32_e64 s0, v19, v16
	s_and_not1_b32 s1, s1, exec_lo
	s_delay_alu instid0(VALU_DEP_1) | instskip(NEXT) | instid1(SALU_CYCLE_1)
	s_and_b32 s0, vcc_lo, s0
	s_and_b32 s0, s0, exec_lo
	s_delay_alu instid0(SALU_CYCLE_1)
	s_or_b32 s1, s1, s0
.LBB9_15:                               ;   in Loop: Header=BB9_13 Depth=1
	s_or_b32 exec_lo, exec_lo, s2
	s_delay_alu instid0(VALU_DEP_2)
	s_and_saveexec_b32 s0, s1
	s_cbranch_execz .LBB9_17
; %bb.16:                               ;   in Loop: Header=BB9_13 Depth=1
	s_waitcnt lgkmcnt(0)
	v_dual_mov_b32 v17, v18 :: v_dual_mov_b32 v16, v19
	v_mov_b32_e32 v91, v20
.LBB9_17:                               ;   in Loop: Header=BB9_13 Depth=1
	s_or_b32 exec_lo, exec_lo, s0
	s_waitcnt lgkmcnt(1)
	ds_bpermute_b32 v20, v71, v17
	s_waitcnt lgkmcnt(1)
	ds_bpermute_b32 v19, v71, v91
	ds_bpermute_b32 v18, v71, v16
	s_mov_b32 s2, exec_lo
	s_waitcnt lgkmcnt(2)
	v_cmp_lt_f32_e64 s1, v17, v20
	v_cmpx_nlt_f32_e32 v17, v20
	s_cbranch_execz .LBB9_19
; %bb.18:                               ;   in Loop: Header=BB9_13 Depth=1
	v_cmp_eq_f32_e32 vcc_lo, v17, v20
	s_waitcnt lgkmcnt(0)
	v_cmp_lt_i32_e64 s0, v18, v16
	s_and_not1_b32 s1, s1, exec_lo
	s_delay_alu instid0(VALU_DEP_1) | instskip(NEXT) | instid1(SALU_CYCLE_1)
	s_and_b32 s0, vcc_lo, s0
	s_and_b32 s0, s0, exec_lo
	s_delay_alu instid0(SALU_CYCLE_1)
	s_or_b32 s1, s1, s0
.LBB9_19:                               ;   in Loop: Header=BB9_13 Depth=1
	s_or_b32 exec_lo, exec_lo, s2
	s_delay_alu instid0(VALU_DEP_2)
	s_and_saveexec_b32 s0, s1
	s_cbranch_execz .LBB9_21
; %bb.20:                               ;   in Loop: Header=BB9_13 Depth=1
	s_waitcnt lgkmcnt(0)
	v_dual_mov_b32 v17, v20 :: v_dual_mov_b32 v16, v18
	v_mov_b32_e32 v91, v19
.LBB9_21:                               ;   in Loop: Header=BB9_13 Depth=1
	s_or_b32 exec_lo, exec_lo, s0
	ds_bpermute_b32 v20, v72, v17
	s_waitcnt lgkmcnt(2)
	ds_bpermute_b32 v19, v72, v91
	s_waitcnt lgkmcnt(2)
	ds_bpermute_b32 v18, v72, v16
	s_mov_b32 s2, exec_lo
	s_waitcnt lgkmcnt(2)
	v_cmp_lt_f32_e64 s1, v17, v20
	v_cmpx_nlt_f32_e32 v17, v20
	s_cbranch_execz .LBB9_23
; %bb.22:                               ;   in Loop: Header=BB9_13 Depth=1
	v_cmp_eq_f32_e32 vcc_lo, v17, v20
	s_waitcnt lgkmcnt(0)
	v_cmp_lt_i32_e64 s0, v18, v16
	s_and_not1_b32 s1, s1, exec_lo
	s_delay_alu instid0(VALU_DEP_1) | instskip(NEXT) | instid1(SALU_CYCLE_1)
	s_and_b32 s0, vcc_lo, s0
	s_and_b32 s0, s0, exec_lo
	s_delay_alu instid0(SALU_CYCLE_1)
	s_or_b32 s1, s1, s0
.LBB9_23:                               ;   in Loop: Header=BB9_13 Depth=1
	s_or_b32 exec_lo, exec_lo, s2
	s_delay_alu instid0(VALU_DEP_2)
	s_and_saveexec_b32 s0, s1
	s_cbranch_execz .LBB9_25
; %bb.24:                               ;   in Loop: Header=BB9_13 Depth=1
	s_waitcnt lgkmcnt(0)
	v_dual_mov_b32 v17, v20 :: v_dual_mov_b32 v16, v18
	v_mov_b32_e32 v91, v19
.LBB9_25:                               ;   in Loop: Header=BB9_13 Depth=1
	s_or_b32 exec_lo, exec_lo, s0
	ds_bpermute_b32 v20, v73, v17
	s_waitcnt lgkmcnt(2)
	ds_bpermute_b32 v19, v73, v91
	s_waitcnt lgkmcnt(2)
	ds_bpermute_b32 v18, v73, v16
	s_mov_b32 s2, exec_lo
	s_waitcnt lgkmcnt(2)
	v_cmp_lt_f32_e64 s1, v17, v20
	v_cmpx_nlt_f32_e32 v17, v20
	s_cbranch_execz .LBB9_27
; %bb.26:                               ;   in Loop: Header=BB9_13 Depth=1
	v_cmp_eq_f32_e32 vcc_lo, v17, v20
	s_waitcnt lgkmcnt(0)
	v_cmp_lt_i32_e64 s0, v18, v16
	s_and_not1_b32 s1, s1, exec_lo
	s_delay_alu instid0(VALU_DEP_1) | instskip(NEXT) | instid1(SALU_CYCLE_1)
	s_and_b32 s0, vcc_lo, s0
	s_and_b32 s0, s0, exec_lo
	s_delay_alu instid0(SALU_CYCLE_1)
	s_or_b32 s1, s1, s0
.LBB9_27:                               ;   in Loop: Header=BB9_13 Depth=1
	s_or_b32 exec_lo, exec_lo, s2
	s_delay_alu instid0(VALU_DEP_2)
	s_and_saveexec_b32 s0, s1
	s_cbranch_execz .LBB9_29
; %bb.28:                               ;   in Loop: Header=BB9_13 Depth=1
	s_waitcnt lgkmcnt(0)
	v_dual_mov_b32 v17, v20 :: v_dual_mov_b32 v16, v18
	v_mov_b32_e32 v91, v19
.LBB9_29:                               ;   in Loop: Header=BB9_13 Depth=1
	s_or_b32 exec_lo, exec_lo, s0
	ds_bpermute_b32 v20, v74, v17
	s_waitcnt lgkmcnt(2)
	ds_bpermute_b32 v19, v74, v91
	s_waitcnt lgkmcnt(2)
	ds_bpermute_b32 v18, v74, v16
	s_mov_b32 s2, exec_lo
	s_waitcnt lgkmcnt(2)
	v_cmp_lt_f32_e64 s1, v17, v20
	v_cmpx_nlt_f32_e32 v17, v20
	s_cbranch_execz .LBB9_31
; %bb.30:                               ;   in Loop: Header=BB9_13 Depth=1
	v_cmp_eq_f32_e32 vcc_lo, v17, v20
	s_waitcnt lgkmcnt(0)
	v_cmp_lt_i32_e64 s0, v18, v16
	s_and_not1_b32 s1, s1, exec_lo
	s_delay_alu instid0(VALU_DEP_1) | instskip(NEXT) | instid1(SALU_CYCLE_1)
	s_and_b32 s0, vcc_lo, s0
	s_and_b32 s0, s0, exec_lo
	s_delay_alu instid0(SALU_CYCLE_1)
	s_or_b32 s1, s1, s0
.LBB9_31:                               ;   in Loop: Header=BB9_13 Depth=1
	s_or_b32 exec_lo, exec_lo, s2
	s_delay_alu instid0(VALU_DEP_2)
	s_and_saveexec_b32 s0, s1
	s_cbranch_execz .LBB9_33
; %bb.32:                               ;   in Loop: Header=BB9_13 Depth=1
	s_waitcnt lgkmcnt(0)
	v_dual_mov_b32 v91, v19 :: v_dual_mov_b32 v16, v18
.LBB9_33:                               ;   in Loop: Header=BB9_13 Depth=1
	s_or_b32 exec_lo, exec_lo, s0
	s_delay_alu instid0(VALU_DEP_1) | instskip(NEXT) | instid1(VALU_DEP_1)
	v_and_b32_e32 v17, 31, v16
	v_cmp_eq_u32_e32 vcc_lo, v17, v36
	s_and_saveexec_b32 s1, vcc_lo
	s_cbranch_execz .LBB9_35
; %bb.34:                               ;   in Loop: Header=BB9_13 Depth=1
	v_ashrrev_i32_e32 v17, 31, v16
	s_delay_alu instid0(VALU_DEP_1) | instskip(NEXT) | instid1(VALU_DEP_1)
	v_lshrrev_b32_e32 v17, 27, v17
	v_add_nc_u32_e32 v17, v16, v17
	s_delay_alu instid0(VALU_DEP_1) | instskip(NEXT) | instid1(VALU_DEP_1)
	v_ashrrev_i32_e32 v17, 5, v17
	v_cmp_ne_u32_e64 s0, 15, v17
	s_delay_alu instid0(VALU_DEP_1) | instskip(SKIP_1) | instid1(VALU_DEP_1)
	v_cndmask_b32_e64 v90, 0xff800000, v90, s0
	v_cmp_ne_u32_e64 s0, 14, v17
	v_cndmask_b32_e64 v89, 0xff800000, v89, s0
	v_cmp_ne_u32_e64 s0, 13, v17
	s_delay_alu instid0(VALU_DEP_1) | instskip(SKIP_1) | instid1(VALU_DEP_1)
	v_cndmask_b32_e64 v88, 0xff800000, v88, s0
	v_cmp_ne_u32_e64 s0, 12, v17
	v_cndmask_b32_e64 v87, 0xff800000, v87, s0
	;; [unrolled: 5-line block ×8, first 2 shown]
.LBB9_35:                               ;   in Loop: Header=BB9_13 Depth=1
	s_or_b32 exec_lo, exec_lo, s1
	s_and_saveexec_b32 s0, vcc_lo
	s_cbranch_execz .LBB9_12
; %bb.36:                               ;   in Loop: Header=BB9_13 Depth=1
	v_add_f32_e32 v17, v66, v91
	global_store_b32 v[33:34], v16, off
	v_cndmask_b32_e64 v66, v66, v17, s17
	s_branch .LBB9_12
.LBB9_37:
	s_and_b32 vcc_lo, exec_lo, s17
	s_cbranch_vccz .LBB9_39
; %bb.38:
	s_delay_alu instid0(VALU_DEP_1) | instskip(SKIP_3) | instid1(VALU_DEP_3)
	v_xor_b32_e32 v16, 16, v52
	v_xor_b32_e32 v17, 8, v52
	s_waitcnt vmcnt(0)
	v_xor_b32_e32 v18, 4, v52
	v_cmp_gt_i32_e32 vcc_lo, 32, v16
	v_cndmask_b32_e32 v16, v52, v16, vcc_lo
	v_cmp_gt_i32_e32 vcc_lo, 32, v17
	v_cndmask_b32_e32 v17, v52, v17, vcc_lo
	v_cmp_gt_i32_e32 vcc_lo, 32, v18
	s_delay_alu instid0(VALU_DEP_2)
	v_lshlrev_b32_e32 v17, 2, v17
	v_lshlrev_b32_e32 v16, 2, v16
	v_cndmask_b32_e32 v18, v52, v18, vcc_lo
	ds_bpermute_b32 v16, v16, v66
	v_lshlrev_b32_e32 v18, 2, v18
	s_waitcnt lgkmcnt(0)
	v_add_f32_e32 v16, v66, v16
	ds_bpermute_b32 v17, v17, v16
	s_waitcnt lgkmcnt(0)
	v_add_f32_e32 v16, v16, v17
	ds_bpermute_b32 v17, v18, v16
	v_xor_b32_e32 v18, 2, v52
	s_delay_alu instid0(VALU_DEP_1) | instskip(SKIP_1) | instid1(VALU_DEP_1)
	v_cmp_gt_i32_e32 vcc_lo, 32, v18
	v_cndmask_b32_e32 v18, v52, v18, vcc_lo
	v_lshlrev_b32_e32 v18, 2, v18
	s_waitcnt lgkmcnt(0)
	v_add_f32_e32 v16, v16, v17
	ds_bpermute_b32 v17, v18, v16
	v_xor_b32_e32 v18, 1, v52
	s_delay_alu instid0(VALU_DEP_1) | instskip(SKIP_1) | instid1(VALU_DEP_1)
	v_cmp_gt_i32_e32 vcc_lo, 32, v18
	v_cndmask_b32_e32 v18, v52, v18, vcc_lo
	v_lshlrev_b32_e32 v18, 2, v18
	s_waitcnt lgkmcnt(0)
	v_add_f32_e32 v16, v16, v17
	ds_bpermute_b32 v17, v18, v16
	v_max_f32_e64 v18, s26, s26
	s_waitcnt lgkmcnt(0)
	v_add_f32_e32 v16, v16, v17
	s_delay_alu instid0(VALU_DEP_1) | instskip(NEXT) | instid1(VALU_DEP_1)
	v_max_f32_e32 v16, v16, v18
	v_div_scale_f32 v17, null, v16, v16, 1.0
	v_div_scale_f32 v20, vcc_lo, 1.0, v16, 1.0
	s_delay_alu instid0(VALU_DEP_2) | instskip(SKIP_2) | instid1(VALU_DEP_1)
	v_rcp_f32_e32 v18, v17
	s_waitcnt_depctr 0xfff
	v_fma_f32 v19, -v17, v18, 1.0
	v_fmac_f32_e32 v18, v19, v18
	s_delay_alu instid0(VALU_DEP_1) | instskip(NEXT) | instid1(VALU_DEP_1)
	v_mul_f32_e32 v19, v20, v18
	v_fma_f32 v21, -v17, v19, v20
	s_delay_alu instid0(VALU_DEP_1) | instskip(NEXT) | instid1(VALU_DEP_1)
	v_fmac_f32_e32 v19, v21, v18
	v_fma_f32 v17, -v17, v19, v20
	s_delay_alu instid0(VALU_DEP_1) | instskip(NEXT) | instid1(VALU_DEP_1)
	v_div_fmas_f32 v17, v17, v18, v19
	v_div_fixup_f32 v16, v17, v16, 1.0
	s_delay_alu instid0(VALU_DEP_1)
	v_mul_f32_e32 v7, v16, v7
	v_mul_f32_e32 v0, v16, v0
	;; [unrolled: 1-line block ×16, first 2 shown]
.LBB9_39:
	v_cmp_gt_i32_e64 s0, s25, v51
	v_cmp_gt_i32_e64 s1, s25, v50
	;; [unrolled: 1-line block ×16, first 2 shown]
	s_and_not1_b32 vcc_lo, exec_lo, s16
	s_cbranch_vccnz .LBB9_41
; %bb.40:
	v_dual_max_f32 v16, v0, v0 :: v_dual_max_f32 v17, v1, v1
	s_waitcnt vmcnt(0)
	v_max_f32_e32 v18, v2, v2
	s_delay_alu instid0(VALU_DEP_2) | instskip(NEXT) | instid1(VALU_DEP_1)
	v_max_f32_e32 v16, 0xff800000, v16
	v_cndmask_b32_e64 v16, 0xff800000, v16, s15
	s_delay_alu instid0(VALU_DEP_1) | instskip(NEXT) | instid1(VALU_DEP_1)
	v_max_f32_e32 v17, v16, v17
	v_cndmask_b32_e64 v16, v16, v17, s0
	s_delay_alu instid0(VALU_DEP_1) | instskip(NEXT) | instid1(VALU_DEP_1)
	v_dual_max_f32 v17, v16, v18 :: v_dual_max_f32 v18, v3, v3
	v_cndmask_b32_e64 v16, v16, v17, s1
	s_delay_alu instid0(VALU_DEP_1) | instskip(SKIP_1) | instid1(VALU_DEP_2)
	v_max_f32_e32 v17, v16, v18
	v_max_f32_e32 v18, v4, v4
	v_cndmask_b32_e64 v16, v16, v17, s2
	s_delay_alu instid0(VALU_DEP_1) | instskip(NEXT) | instid1(VALU_DEP_1)
	v_max_f32_e32 v17, v16, v18
	v_cndmask_b32_e64 v16, v16, v17, s3
	s_delay_alu instid0(VALU_DEP_1) | instskip(NEXT) | instid1(VALU_DEP_1)
	v_dual_max_f32 v17, v5, v5 :: v_dual_max_f32 v18, v16, v16
	v_max_f32_e32 v17, v18, v17
	s_delay_alu instid0(VALU_DEP_1) | instskip(NEXT) | instid1(VALU_DEP_1)
	v_cndmask_b32_e64 v16, v16, v17, s4
	v_dual_max_f32 v17, v6, v6 :: v_dual_max_f32 v18, v16, v16
	s_delay_alu instid0(VALU_DEP_1) | instskip(NEXT) | instid1(VALU_DEP_1)
	v_max_f32_e32 v17, v18, v17
	v_cndmask_b32_e64 v16, v16, v17, s5
	s_delay_alu instid0(VALU_DEP_1) | instskip(NEXT) | instid1(VALU_DEP_1)
	v_dual_max_f32 v17, v7, v7 :: v_dual_max_f32 v18, v16, v16
	v_max_f32_e32 v17, v18, v17
	s_delay_alu instid0(VALU_DEP_1) | instskip(SKIP_1) | instid1(VALU_DEP_2)
	v_cndmask_b32_e64 v16, v16, v17, s6
	v_max_f32_e32 v17, v8, v8
	v_max_f32_e32 v18, v16, v16
	s_delay_alu instid0(VALU_DEP_1) | instskip(NEXT) | instid1(VALU_DEP_1)
	v_max_f32_e32 v17, v18, v17
	v_cndmask_b32_e64 v16, v16, v17, s7
	s_delay_alu instid0(VALU_DEP_1) | instskip(NEXT) | instid1(VALU_DEP_1)
	v_dual_max_f32 v17, v9, v9 :: v_dual_max_f32 v18, v16, v16
	v_max_f32_e32 v17, v18, v17
	s_delay_alu instid0(VALU_DEP_1) | instskip(NEXT) | instid1(VALU_DEP_1)
	v_cndmask_b32_e64 v16, v16, v17, s8
	v_dual_max_f32 v17, v10, v10 :: v_dual_max_f32 v18, v16, v16
	s_delay_alu instid0(VALU_DEP_1) | instskip(NEXT) | instid1(VALU_DEP_1)
	v_max_f32_e32 v17, v18, v17
	v_cndmask_b32_e64 v16, v16, v17, s9
	s_delay_alu instid0(VALU_DEP_1) | instskip(NEXT) | instid1(VALU_DEP_1)
	v_dual_max_f32 v17, v11, v11 :: v_dual_max_f32 v18, v16, v16
	v_max_f32_e32 v17, v18, v17
	s_delay_alu instid0(VALU_DEP_1) | instskip(SKIP_1) | instid1(VALU_DEP_2)
	v_cndmask_b32_e64 v16, v16, v17, s10
	v_max_f32_e32 v17, v12, v12
	v_max_f32_e32 v18, v16, v16
	s_delay_alu instid0(VALU_DEP_1) | instskip(NEXT) | instid1(VALU_DEP_1)
	v_max_f32_e32 v17, v18, v17
	v_cndmask_b32_e64 v16, v16, v17, s11
	s_delay_alu instid0(VALU_DEP_1) | instskip(NEXT) | instid1(VALU_DEP_1)
	v_dual_max_f32 v17, v13, v13 :: v_dual_max_f32 v18, v16, v16
	v_max_f32_e32 v17, v18, v17
	s_delay_alu instid0(VALU_DEP_1) | instskip(NEXT) | instid1(VALU_DEP_1)
	v_cndmask_b32_e64 v16, v16, v17, s12
	v_dual_max_f32 v17, v14, v14 :: v_dual_max_f32 v18, v16, v16
	s_delay_alu instid0(VALU_DEP_1) | instskip(NEXT) | instid1(VALU_DEP_1)
	v_dual_max_f32 v17, v18, v17 :: v_dual_max_f32 v18, v15, v15
	v_cndmask_b32_e64 v17, v16, v17, s13
	v_xor_b32_e32 v16, 16, v52
	s_delay_alu instid0(VALU_DEP_2) | instskip(NEXT) | instid1(VALU_DEP_2)
	v_max_f32_e32 v19, v17, v17
	v_cmp_gt_i32_e32 vcc_lo, 32, v16
	s_delay_alu instid0(VALU_DEP_2) | instskip(SKIP_2) | instid1(VALU_DEP_3)
	v_max_f32_e32 v18, v19, v18
	v_cndmask_b32_e32 v16, v52, v16, vcc_lo
	v_xor_b32_e32 v19, 8, v52
	v_cndmask_b32_e64 v17, v17, v18, s14
	s_delay_alu instid0(VALU_DEP_3) | instskip(NEXT) | instid1(VALU_DEP_3)
	v_lshlrev_b32_e32 v16, 2, v16
	v_cmp_gt_i32_e32 vcc_lo, 32, v19
	s_delay_alu instid0(VALU_DEP_3) | instskip(SKIP_3) | instid1(VALU_DEP_1)
	v_max_f32_e32 v20, v17, v17
	ds_bpermute_b32 v18, v16, v17
	v_cndmask_b32_e32 v19, v52, v19, vcc_lo
	s_waitcnt lgkmcnt(0)
	v_dual_max_f32 v18, v18, v18 :: v_dual_lshlrev_b32 v17, 2, v19
	s_delay_alu instid0(VALU_DEP_1)
	v_max_f32_e32 v19, v20, v18
	v_xor_b32_e32 v20, 4, v52
	ds_bpermute_b32 v18, v17, v19
	v_cmp_gt_i32_e32 vcc_lo, 32, v20
	s_waitcnt lgkmcnt(0)
	v_dual_cndmask_b32 v20, v52, v20 :: v_dual_max_f32 v21, v18, v18
	s_delay_alu instid0(VALU_DEP_1) | instskip(NEXT) | instid1(VALU_DEP_2)
	v_lshlrev_b32_e32 v18, 2, v20
	v_max_f32_e32 v20, v19, v21
	v_xor_b32_e32 v21, 2, v52
	ds_bpermute_b32 v19, v18, v20
	v_cmp_gt_i32_e32 vcc_lo, 32, v21
	s_waitcnt lgkmcnt(0)
	v_dual_cndmask_b32 v21, v52, v21 :: v_dual_max_f32 v22, v19, v19
	s_delay_alu instid0(VALU_DEP_1) | instskip(NEXT) | instid1(VALU_DEP_2)
	v_lshlrev_b32_e32 v19, 2, v21
	v_max_f32_e32 v21, v20, v22
	v_xor_b32_e32 v22, 1, v52
	ds_bpermute_b32 v20, v19, v21
	v_cmp_gt_i32_e32 vcc_lo, 32, v22
	v_cndmask_b32_e32 v22, v52, v22, vcc_lo
	s_waitcnt lgkmcnt(0)
	s_delay_alu instid0(VALU_DEP_1) | instskip(NEXT) | instid1(VALU_DEP_1)
	v_dual_max_f32 v23, v20, v20 :: v_dual_lshlrev_b32 v20, 2, v22
	v_max_f32_e32 v21, v21, v23
	ds_bpermute_b32 v22, v20, v21
	s_waitcnt lgkmcnt(0)
	v_max_f32_e32 v22, v22, v22
	s_delay_alu instid0(VALU_DEP_1) | instskip(NEXT) | instid1(VALU_DEP_1)
	v_max_f32_e32 v21, v21, v22
	v_sub_f32_e32 v12, v12, v21
	s_delay_alu instid0(VALU_DEP_1)
	v_dual_mul_f32 v34, 0x3fb8aa3b, v12 :: v_dual_sub_f32 v15, v15, v21
	v_sub_f32_e32 v1, v1, v21
	v_sub_f32_e32 v6, v6, v21
	;; [unrolled: 1-line block ×4, first 2 shown]
	v_mul_f32_e32 v54, 0x3fb8aa3b, v15
	s_delay_alu instid0(VALU_DEP_4) | instskip(NEXT) | instid1(VALU_DEP_4)
	v_dual_mul_f32 v22, 0x3fb8aa3b, v1 :: v_dual_mul_f32 v27, 0x3fb8aa3b, v6
	v_dual_sub_f32 v14, v14, v21 :: v_dual_mul_f32 v31, 0x3fb8aa3b, v10
	s_delay_alu instid0(VALU_DEP_4) | instskip(NEXT) | instid1(VALU_DEP_3)
	v_dual_sub_f32 v0, v0, v21 :: v_dual_mul_f32 v23, 0x3fb8aa3b, v2
	v_rndne_f32_e32 v58, v22
	v_sub_f32_e32 v3, v3, v21
	v_fma_f32 v57, 0x3fb8aa3b, v1, -v22
	v_sub_f32_e32 v4, v4, v21
	v_sub_f32_e32 v8, v8, v21
	;; [unrolled: 1-line block ×3, first 2 shown]
	v_mul_f32_e32 v24, 0x3fb8aa3b, v3
	v_fmac_f32_e32 v57, 0x32a5705f, v1
	v_mul_f32_e32 v53, 0x3fb8aa3b, v14
	v_cvt_i32_f32_e32 v58, v58
	v_cmp_ngt_f32_e32 vcc_lo, 0xc2ce8ed0, v0
	v_rndne_f32_e32 v62, v24
	v_add_f32_e32 v22, v22, v57
	v_sub_f32_e32 v5, v5, v21
	v_fma_f32 v61, 0x3fb8aa3b, v3, -v24
	v_fma_f32 v59, 0x3fb8aa3b, v2, -v23
	v_sub_f32_e32 v24, v24, v62
	v_exp_f32_e32 v22, v22
	v_mul_f32_e32 v26, 0x3fb8aa3b, v5
	v_fmac_f32_e32 v61, 0x32a5705f, v3
	v_rndne_f32_e32 v60, v23
	v_rndne_f32_e32 v80, v34
	v_fmac_f32_e32 v59, 0x32a5705f, v2
	v_rndne_f32_e32 v66, v26
	v_sub_f32_e32 v7, v7, v21
	v_fma_f32 v65, 0x3fb8aa3b, v5, -v26
	v_rndne_f32_e32 v84, v53
	v_ldexp_f32 v22, v22, v58
	v_sub_f32_e32 v26, v26, v66
	v_dual_mul_f32 v28, 0x3fb8aa3b, v7 :: v_dual_sub_f32 v13, v13, v21
	v_fma_f32 v83, 0x3fb8aa3b, v14, -v53
	v_cvt_i32_f32_e32 v62, v62
	v_cvt_i32_f32_e32 v66, v66
	s_delay_alu instid0(VALU_DEP_4)
	v_rndne_f32_e32 v70, v28
	v_sub_f32_e32 v9, v9, v21
	v_fma_f32 v69, 0x3fb8aa3b, v7, -v28
	v_fmac_f32_e32 v83, 0x32a5705f, v14
	v_fma_f32 v67, 0x3fb8aa3b, v6, -v27
	v_sub_f32_e32 v28, v28, v70
	v_mul_f32_e32 v30, 0x3fb8aa3b, v9
	v_rndne_f32_e32 v68, v27
	v_cvt_i32_f32_e32 v70, v70
	v_fma_f32 v75, 0x3fb8aa3b, v10, -v31
	v_rndne_f32_e32 v76, v31
	v_rndne_f32_e32 v74, v30
	v_sub_f32_e32 v11, v11, v21
	v_dual_mul_f32 v21, 0x3fb8aa3b, v0 :: v_dual_add_f32 v24, v24, v61
	v_mul_f32_e32 v25, 0x3fb8aa3b, v4
	v_fma_f32 v73, 0x3fb8aa3b, v9, -v30
	v_sub_f32_e32 v30, v30, v74
	s_delay_alu instid0(VALU_DEP_4)
	v_fma_f32 v55, 0x3fb8aa3b, v0, -v21
	v_rndne_f32_e32 v56, v21
	v_fma_f32 v63, 0x3fb8aa3b, v4, -v25
	v_rndne_f32_e32 v64, v25
	v_sub_f32_e32 v27, v27, v68
	v_fmac_f32_e32 v55, 0x32a5705f, v0
	v_sub_f32_e32 v21, v21, v56
	v_cvt_i32_f32_e32 v56, v56
	v_sub_f32_e32 v25, v25, v64
	v_cvt_i32_f32_e32 v64, v64
	v_cvt_i32_f32_e32 v68, v68
	v_add_f32_e32 v21, v21, v55
	v_mul_f32_e32 v29, 0x3fb8aa3b, v8
	v_fmac_f32_e32 v75, 0x32a5705f, v10
	v_sub_f32_e32 v31, v31, v76
	v_cvt_i32_f32_e32 v57, v74
	v_exp_f32_e32 v21, v21
	v_fma_f32 v71, 0x3fb8aa3b, v8, -v29
	v_rndne_f32_e32 v72, v29
	v_fma_f32 v79, 0x3fb8aa3b, v12, -v34
	v_rndne_f32_e32 v86, v54
	s_delay_alu instid0(VALU_DEP_4) | instskip(NEXT) | instid1(VALU_DEP_4)
	v_fmac_f32_e32 v71, 0x32a5705f, v8
	v_sub_f32_e32 v29, v29, v72
	v_cvt_i32_f32_e32 v55, v72
	v_fmac_f32_e32 v79, 0x32a5705f, v12
	s_delay_alu instid0(TRANS32_DEP_1) | instskip(NEXT) | instid1(VALU_DEP_1)
	v_ldexp_f32 v21, v21, v56
	v_cndmask_b32_e32 v21, 0, v21, vcc_lo
	v_cmp_ngt_f32_e32 vcc_lo, 0xc2ce8ed0, v1
	v_cndmask_b32_e32 v22, 0, v22, vcc_lo
	v_cmp_nlt_f32_e32 vcc_lo, 0x42b17218, v0
	v_sub_f32_e32 v23, v23, v60
	v_dual_mul_f32 v33, 0x3fb8aa3b, v11 :: v_dual_mul_f32 v52, 0x3fb8aa3b, v13
	v_cvt_i32_f32_e32 v60, v60
	s_delay_alu instid0(VALU_DEP_3) | instskip(SKIP_1) | instid1(VALU_DEP_4)
	v_dual_cndmask_b32 v0, 0x7f800000, v21 :: v_dual_add_f32 v23, v23, v59
	v_cmp_nlt_f32_e32 vcc_lo, 0x42b17218, v1
	v_rndne_f32_e32 v82, v52
	v_fmac_f32_e32 v69, 0x32a5705f, v7
	v_fmac_f32_e32 v63, 0x32a5705f, v4
	v_exp_f32_e32 v23, v23
	v_exp_f32_e32 v21, v24
	v_cndmask_b32_e32 v1, 0x7f800000, v22, vcc_lo
	v_cmp_ngt_f32_e32 vcc_lo, 0xc2ce8ed0, v2
	v_add_f32_e32 v22, v25, v63
	v_cndmask_b32_e64 v0, 0, v0, s15
	v_cvt_i32_f32_e32 v59, v76
	v_fma_f32 v77, 0x3fb8aa3b, v11, -v33
	v_rndne_f32_e32 v78, v33
	v_exp_f32_e32 v22, v22
	v_ldexp_f32 v23, v23, v60
	v_ldexp_f32 v21, v21, v62
	v_add_f32_e32 v25, v1, v0
	v_fma_f32 v81, 0x3fb8aa3b, v13, -v52
	v_cvt_i32_f32_e32 v24, v78
	v_cndmask_b32_e32 v23, 0, v23, vcc_lo
	v_cmp_nlt_f32_e32 vcc_lo, 0x42b17218, v2
	v_fma_f32 v85, 0x3fb8aa3b, v15, -v54
	v_fmac_f32_e32 v81, 0x32a5705f, v13
	v_ldexp_f32 v22, v22, v64
	v_cndmask_b32_e32 v2, 0x7f800000, v23, vcc_lo
	v_cmp_ngt_f32_e32 vcc_lo, 0xc2ce8ed0, v3
	v_cndmask_b32_e64 v23, v0, v25, s0
	v_fmac_f32_e32 v85, 0x32a5705f, v15
	v_cndmask_b32_e32 v21, 0, v21, vcc_lo
	v_cmp_nlt_f32_e32 vcc_lo, 0x42b17218, v3
	s_delay_alu instid0(VALU_DEP_2) | instskip(SKIP_3) | instid1(VALU_DEP_2)
	v_cndmask_b32_e32 v3, 0x7f800000, v21, vcc_lo
	v_cmp_ngt_f32_e32 vcc_lo, 0xc2ce8ed0, v4
	v_cndmask_b32_e32 v22, 0, v22, vcc_lo
	v_cmp_nlt_f32_e32 vcc_lo, 0x42b17218, v4
	v_cndmask_b32_e32 v4, 0x7f800000, v22, vcc_lo
	v_fmac_f32_e32 v65, 0x32a5705f, v5
	v_cmp_ngt_f32_e32 vcc_lo, 0xc2ce8ed0, v5
	v_add_f32_e32 v22, v28, v69
	s_delay_alu instid0(VALU_DEP_3) | instskip(NEXT) | instid1(VALU_DEP_2)
	v_dual_add_f32 v25, v26, v65 :: v_dual_add_f32 v26, v23, v2
	v_exp_f32_e32 v22, v22
	v_cndmask_b32_e64 v2, 0, v2, s1
	s_delay_alu instid0(VALU_DEP_2) | instskip(NEXT) | instid1(VALU_DEP_2)
	v_exp_f32_e32 v25, v25
	v_cndmask_b32_e64 v21, v23, v26, s1
	v_sub_f32_e32 v26, v34, v80
	s_waitcnt_depctr 0xfff
	v_ldexp_f32 v22, v22, v70
	v_ldexp_f32 v25, v25, v66
	s_delay_alu instid0(VALU_DEP_1) | instskip(SKIP_1) | instid1(VALU_DEP_2)
	v_cndmask_b32_e32 v25, 0, v25, vcc_lo
	v_cmp_nlt_f32_e32 vcc_lo, 0x42b17218, v5
	v_cndmask_b32_e32 v5, 0x7f800000, v25, vcc_lo
	v_fmac_f32_e32 v67, 0x32a5705f, v6
	v_cmp_ngt_f32_e32 vcc_lo, 0xc2ce8ed0, v6
	s_delay_alu instid0(VALU_DEP_2) | instskip(SKIP_1) | instid1(VALU_DEP_2)
	v_add_f32_e32 v23, v27, v67
	v_add_f32_e32 v27, v21, v3
	v_exp_f32_e32 v23, v23
	s_delay_alu instid0(VALU_DEP_1) | instskip(SKIP_1) | instid1(VALU_DEP_2)
	v_cndmask_b32_e64 v21, v21, v27, s2
	v_cvt_i32_f32_e32 v27, v80
	v_add_f32_e32 v28, v21, v4
	v_cndmask_b32_e64 v4, 0, v4, s3
	s_waitcnt_depctr 0xfff
	v_ldexp_f32 v23, v23, v68
	v_cndmask_b32_e64 v21, v21, v28, s3
	s_delay_alu instid0(VALU_DEP_2) | instskip(SKIP_1) | instid1(VALU_DEP_3)
	v_cndmask_b32_e32 v23, 0, v23, vcc_lo
	v_cmp_nlt_f32_e32 vcc_lo, 0x42b17218, v6
	v_add_f32_e32 v28, v21, v5
	s_delay_alu instid0(VALU_DEP_3) | instskip(SKIP_1) | instid1(VALU_DEP_3)
	v_cndmask_b32_e32 v6, 0x7f800000, v23, vcc_lo
	v_cmp_ngt_f32_e32 vcc_lo, 0xc2ce8ed0, v7
	v_cndmask_b32_e64 v21, v21, v28, s4
	v_sub_f32_e32 v28, v52, v82
	v_sub_f32_e32 v33, v33, v78
	v_cndmask_b32_e32 v22, 0, v22, vcc_lo
	v_cmp_nlt_f32_e32 vcc_lo, 0x42b17218, v7
	s_delay_alu instid0(VALU_DEP_2)
	v_dual_cndmask_b32 v7, 0x7f800000, v22 :: v_dual_add_f32 v22, v31, v75
	v_add_f32_e32 v25, v29, v71
	v_add_f32_e32 v29, v21, v6
	v_cmp_ngt_f32_e32 vcc_lo, 0xc2ce8ed0, v8
	v_cndmask_b32_e64 v6, 0, v6, s5
	v_exp_f32_e32 v22, v22
	v_exp_f32_e32 v25, v25
	v_cndmask_b32_e64 v21, v21, v29, s5
	v_fmac_f32_e32 v73, 0x32a5705f, v9
	v_cvt_i32_f32_e32 v29, v82
	s_delay_alu instid0(VALU_DEP_2)
	v_dual_add_f32 v23, v30, v73 :: v_dual_add_f32 v30, v21, v7
	s_waitcnt_depctr 0xfff
	v_ldexp_f32 v22, v22, v59
	v_ldexp_f32 v25, v25, v55
	v_exp_f32_e32 v23, v23
	v_cndmask_b32_e64 v21, v21, v30, s6
	s_delay_alu instid0(VALU_DEP_2) | instskip(SKIP_1) | instid1(VALU_DEP_2)
	v_cndmask_b32_e32 v25, 0, v25, vcc_lo
	v_cmp_nlt_f32_e32 vcc_lo, 0x42b17218, v8
	v_cndmask_b32_e32 v8, 0x7f800000, v25, vcc_lo
	s_waitcnt_depctr 0xfff
	v_ldexp_f32 v23, v23, v57
	v_cmp_ngt_f32_e32 vcc_lo, 0xc2ce8ed0, v9
	v_add_f32_e32 v30, v21, v8
	v_cndmask_b32_e64 v8, 0, v8, s7
	s_delay_alu instid0(VALU_DEP_4) | instskip(SKIP_1) | instid1(VALU_DEP_4)
	v_cndmask_b32_e32 v23, 0, v23, vcc_lo
	v_cmp_nlt_f32_e32 vcc_lo, 0x42b17218, v9
	v_cndmask_b32_e64 v21, v21, v30, s7
	s_delay_alu instid0(VALU_DEP_3) | instskip(SKIP_3) | instid1(VALU_DEP_4)
	v_cndmask_b32_e32 v9, 0x7f800000, v23, vcc_lo
	v_cmp_ngt_f32_e32 vcc_lo, 0xc2ce8ed0, v10
	v_fmac_f32_e32 v77, 0x32a5705f, v11
	v_dual_add_f32 v23, v26, v79 :: v_dual_sub_f32 v26, v53, v84
	v_add_f32_e32 v30, v21, v9
	v_cndmask_b32_e32 v22, 0, v22, vcc_lo
	v_cmp_nlt_f32_e32 vcc_lo, 0x42b17218, v10
	s_delay_alu instid0(VALU_DEP_4) | instskip(NEXT) | instid1(VALU_DEP_3)
	v_exp_f32_e32 v23, v23
	v_cndmask_b32_e64 v21, v21, v30, s8
	s_delay_alu instid0(VALU_DEP_3) | instskip(SKIP_3) | instid1(VALU_DEP_3)
	v_cndmask_b32_e32 v10, 0x7f800000, v22, vcc_lo
	v_add_f32_e32 v22, v28, v81
	v_add_f32_e32 v25, v33, v77
	v_cmp_ngt_f32_e32 vcc_lo, 0xc2ce8ed0, v11
	v_exp_f32_e32 v22, v22
	s_delay_alu instid0(VALU_DEP_2) | instskip(NEXT) | instid1(TRANS32_DEP_3)
	v_exp_f32_e32 v25, v25
	v_ldexp_f32 v23, v23, v27
	s_waitcnt_depctr 0xfff
	v_ldexp_f32 v22, v22, v29
	v_ldexp_f32 v24, v25, v24
	v_add_f32_e32 v25, v21, v10
	v_cndmask_b32_e64 v10, 0, v10, s9
	s_delay_alu instid0(VALU_DEP_3) | instskip(SKIP_1) | instid1(VALU_DEP_4)
	v_cndmask_b32_e32 v24, 0, v24, vcc_lo
	v_cmp_nlt_f32_e32 vcc_lo, 0x42b17218, v11
	v_cndmask_b32_e64 v21, v21, v25, s9
	v_sub_f32_e32 v25, v54, v86
	s_delay_alu instid0(VALU_DEP_4) | instskip(SKIP_3) | instid1(VALU_DEP_4)
	v_cndmask_b32_e32 v11, 0x7f800000, v24, vcc_lo
	v_cmp_ngt_f32_e32 vcc_lo, 0xc2ce8ed0, v12
	v_add_f32_e32 v24, v26, v83
	v_cndmask_b32_e64 v1, 0, v1, s0
	v_add_f32_e32 v26, v21, v11
	v_cndmask_b32_e32 v23, 0, v23, vcc_lo
	v_cmp_nlt_f32_e32 vcc_lo, 0x42b17218, v12
	v_exp_f32_e32 v24, v24
	v_cndmask_b32_e64 v11, 0, v11, s10
	v_cndmask_b32_e64 v21, v21, v26, s10
	v_cndmask_b32_e32 v12, 0x7f800000, v23, vcc_lo
	v_cmp_ngt_f32_e32 vcc_lo, 0xc2ce8ed0, v13
	v_add_f32_e32 v23, v25, v85
	v_cvt_i32_f32_e32 v25, v84
	s_delay_alu instid0(VALU_DEP_4)
	v_add_f32_e32 v26, v21, v12
	v_cndmask_b32_e32 v22, 0, v22, vcc_lo
	v_cmp_nlt_f32_e32 vcc_lo, 0x42b17218, v13
	v_exp_f32_e32 v23, v23
	v_ldexp_f32 v24, v24, v25
	v_cndmask_b32_e64 v21, v21, v26, s11
	v_cndmask_b32_e64 v3, 0, v3, s2
	v_cndmask_b32_e32 v13, 0x7f800000, v22, vcc_lo
	v_cmp_ngt_f32_e32 vcc_lo, 0xc2ce8ed0, v14
	v_cvt_i32_f32_e32 v22, v86
	v_cndmask_b32_e64 v12, 0, v12, s11
	s_delay_alu instid0(VALU_DEP_4) | instskip(SKIP_1) | instid1(VALU_DEP_4)
	v_dual_add_f32 v25, v21, v13 :: v_dual_cndmask_b32 v24, 0, v24
	v_cmp_nlt_f32_e32 vcc_lo, 0x42b17218, v14
	v_ldexp_f32 v22, v23, v22
	v_cndmask_b32_e64 v13, 0, v13, s12
	s_delay_alu instid0(VALU_DEP_4) | instskip(SKIP_2) | instid1(VALU_DEP_2)
	v_cndmask_b32_e64 v21, v21, v25, s12
	v_cndmask_b32_e32 v14, 0x7f800000, v24, vcc_lo
	v_cmp_ngt_f32_e32 vcc_lo, 0xc2ce8ed0, v15
	v_add_f32_e32 v23, v21, v14
	v_cndmask_b32_e32 v22, 0, v22, vcc_lo
	v_cmp_nlt_f32_e32 vcc_lo, 0x42b17218, v15
	v_cndmask_b32_e64 v14, 0, v14, s13
	s_delay_alu instid0(VALU_DEP_4) | instskip(NEXT) | instid1(VALU_DEP_4)
	v_cndmask_b32_e64 v21, v21, v23, s13
	v_cndmask_b32_e32 v15, 0x7f800000, v22, vcc_lo
	s_delay_alu instid0(VALU_DEP_1) | instskip(SKIP_1) | instid1(VALU_DEP_2)
	v_add_f32_e32 v22, v21, v15
	v_cndmask_b32_e64 v15, 0, v15, s14
	v_cndmask_b32_e64 v21, v21, v22, s14
	ds_bpermute_b32 v16, v16, v21
	s_waitcnt lgkmcnt(0)
	v_add_f32_e32 v16, v21, v16
	v_cndmask_b32_e64 v5, 0, v5, s4
	ds_bpermute_b32 v17, v17, v16
	s_waitcnt lgkmcnt(0)
	v_add_f32_e32 v16, v16, v17
	ds_bpermute_b32 v17, v18, v16
	s_waitcnt lgkmcnt(0)
	v_add_f32_e32 v16, v16, v17
	;; [unrolled: 3-line block ×4, first 2 shown]
	v_cndmask_b32_e64 v7, 0, v7, s6
	s_delay_alu instid0(VALU_DEP_2) | instskip(SKIP_1) | instid1(VALU_DEP_2)
	v_div_scale_f32 v17, null, v16, v16, 1.0
	v_div_scale_f32 v20, vcc_lo, 1.0, v16, 1.0
	v_rcp_f32_e32 v18, v17
	s_waitcnt_depctr 0xfff
	v_fma_f32 v19, -v17, v18, 1.0
	s_delay_alu instid0(VALU_DEP_1) | instskip(NEXT) | instid1(VALU_DEP_1)
	v_fmac_f32_e32 v18, v19, v18
	v_mul_f32_e32 v19, v20, v18
	s_delay_alu instid0(VALU_DEP_1) | instskip(NEXT) | instid1(VALU_DEP_1)
	v_fma_f32 v21, -v17, v19, v20
	v_fmac_f32_e32 v19, v21, v18
	s_delay_alu instid0(VALU_DEP_1) | instskip(NEXT) | instid1(VALU_DEP_1)
	v_fma_f32 v17, -v17, v19, v20
	v_div_fmas_f32 v17, v17, v18, v19
	s_delay_alu instid0(VALU_DEP_1) | instskip(NEXT) | instid1(VALU_DEP_1)
	v_div_fixup_f32 v16, v17, v16, 1.0
	v_mul_f32_e32 v24, v7, v16
	v_mul_f32_e32 v28, v11, v16
	v_cndmask_b32_e64 v9, 0, v9, s8
	v_mul_f32_e32 v17, v0, v16
	v_mul_f32_e32 v18, v1, v16
	;; [unrolled: 1-line block ×14, first 2 shown]
	v_cndmask_b32_e64 v0, v0, v17, s15
	v_cndmask_b32_e64 v1, v1, v18, s0
	;; [unrolled: 1-line block ×16, first 2 shown]
.LBB9_41:
	v_mul_lo_u32 v16, v32, s25
	s_mov_b32 s0, exec_lo
	s_delay_alu instid0(VALU_DEP_1) | instskip(NEXT) | instid1(VALU_DEP_1)
	v_ashrrev_i32_e32 v17, 31, v16
	v_lshlrev_b64 v[16:17], 2, v[16:17]
	s_delay_alu instid0(VALU_DEP_1) | instskip(NEXT) | instid1(VALU_DEP_2)
	v_add_co_u32 v16, vcc_lo, s18, v16
	v_add_co_ci_u32_e32 v17, vcc_lo, s19, v17, vcc_lo
	v_cmpx_gt_i32_e64 s25, v36
	s_cbranch_execnz .LBB9_59
; %bb.42:
	s_or_b32 exec_lo, exec_lo, s0
	s_delay_alu instid0(SALU_CYCLE_1)
	s_mov_b32 s0, exec_lo
	v_cmpx_gt_i32_e64 s25, v51
	s_cbranch_execnz .LBB9_60
.LBB9_43:
	s_or_b32 exec_lo, exec_lo, s0
	s_delay_alu instid0(SALU_CYCLE_1)
	s_mov_b32 s0, exec_lo
	v_cmpx_gt_i32_e64 s25, v50
	s_cbranch_execnz .LBB9_61
.LBB9_44:
	s_or_b32 exec_lo, exec_lo, s0
	s_delay_alu instid0(SALU_CYCLE_1)
	s_mov_b32 s0, exec_lo
	v_cmpx_gt_i32_e64 s25, v49
	s_cbranch_execnz .LBB9_62
.LBB9_45:
	s_or_b32 exec_lo, exec_lo, s0
	s_delay_alu instid0(SALU_CYCLE_1)
	s_mov_b32 s0, exec_lo
	v_cmpx_gt_i32_e64 s25, v48
	s_cbranch_execnz .LBB9_63
.LBB9_46:
	s_or_b32 exec_lo, exec_lo, s0
	s_delay_alu instid0(SALU_CYCLE_1)
	s_mov_b32 s0, exec_lo
	v_cmpx_gt_i32_e64 s25, v47
	s_cbranch_execnz .LBB9_64
.LBB9_47:
	s_or_b32 exec_lo, exec_lo, s0
	s_delay_alu instid0(SALU_CYCLE_1)
	s_mov_b32 s0, exec_lo
	v_cmpx_gt_i32_e64 s25, v46
	s_cbranch_execnz .LBB9_65
.LBB9_48:
	s_or_b32 exec_lo, exec_lo, s0
	s_delay_alu instid0(SALU_CYCLE_1)
	s_mov_b32 s0, exec_lo
	v_cmpx_gt_i32_e64 s25, v45
	s_cbranch_execnz .LBB9_66
.LBB9_49:
	s_or_b32 exec_lo, exec_lo, s0
	s_delay_alu instid0(SALU_CYCLE_1)
	s_mov_b32 s0, exec_lo
	v_cmpx_gt_i32_e64 s25, v44
	s_cbranch_execnz .LBB9_67
.LBB9_50:
	s_or_b32 exec_lo, exec_lo, s0
	s_delay_alu instid0(SALU_CYCLE_1)
	s_mov_b32 s0, exec_lo
	v_cmpx_gt_i32_e64 s25, v43
	s_cbranch_execnz .LBB9_68
.LBB9_51:
	s_or_b32 exec_lo, exec_lo, s0
	s_delay_alu instid0(SALU_CYCLE_1)
	s_mov_b32 s0, exec_lo
	v_cmpx_gt_i32_e64 s25, v42
	s_cbranch_execnz .LBB9_69
.LBB9_52:
	s_or_b32 exec_lo, exec_lo, s0
	s_delay_alu instid0(SALU_CYCLE_1)
	s_mov_b32 s0, exec_lo
	v_cmpx_gt_i32_e64 s25, v41
	s_cbranch_execnz .LBB9_70
.LBB9_53:
	s_or_b32 exec_lo, exec_lo, s0
	s_delay_alu instid0(SALU_CYCLE_1)
	s_mov_b32 s0, exec_lo
	v_cmpx_gt_i32_e64 s25, v40
	s_cbranch_execnz .LBB9_71
.LBB9_54:
	s_or_b32 exec_lo, exec_lo, s0
	s_delay_alu instid0(SALU_CYCLE_1)
	s_mov_b32 s0, exec_lo
	v_cmpx_gt_i32_e64 s25, v39
	s_cbranch_execnz .LBB9_72
.LBB9_55:
	s_or_b32 exec_lo, exec_lo, s0
	s_delay_alu instid0(SALU_CYCLE_1)
	s_mov_b32 s0, exec_lo
	v_cmpx_gt_i32_e64 s25, v38
	s_cbranch_execnz .LBB9_73
.LBB9_56:
	s_or_b32 exec_lo, exec_lo, s0
	v_cmp_gt_i32_e32 vcc_lo, s25, v37
	s_and_b32 exec_lo, exec_lo, vcc_lo
	s_cbranch_execz .LBB9_58
.LBB9_57:
	v_add_co_u32 v0, vcc_lo, v16, v35
	v_add_co_ci_u32_e32 v1, vcc_lo, 0, v17, vcc_lo
	v_mul_f32_e32 v2, s27, v15
	global_store_b32 v[0:1], v2, off offset:1920
.LBB9_58:
	s_nop 0
	s_sendmsg sendmsg(MSG_DEALLOC_VGPRS)
	s_endpgm
.LBB9_59:
	s_waitcnt vmcnt(0)
	v_add_co_u32 v18, vcc_lo, v16, v35
	v_add_co_ci_u32_e32 v19, vcc_lo, 0, v17, vcc_lo
	v_mul_f32_e32 v0, s27, v0
	global_store_b32 v[18:19], v0, off
	s_or_b32 exec_lo, exec_lo, s0
	s_delay_alu instid0(SALU_CYCLE_1)
	s_mov_b32 s0, exec_lo
	v_cmpx_gt_i32_e64 s25, v51
	s_cbranch_execz .LBB9_43
.LBB9_60:
	s_waitcnt vmcnt(0)
	v_add_co_u32 v18, vcc_lo, v16, v35
	v_add_co_ci_u32_e32 v19, vcc_lo, 0, v17, vcc_lo
	v_mul_f32_e32 v0, s27, v1
	global_store_b32 v[18:19], v0, off offset:128
	s_or_b32 exec_lo, exec_lo, s0
	s_delay_alu instid0(SALU_CYCLE_1)
	s_mov_b32 s0, exec_lo
	v_cmpx_gt_i32_e64 s25, v50
	s_cbranch_execz .LBB9_44
.LBB9_61:
	v_add_co_u32 v0, vcc_lo, v16, v35
	v_add_co_ci_u32_e32 v1, vcc_lo, 0, v17, vcc_lo
	v_mul_f32_e32 v2, s27, v2
	global_store_b32 v[0:1], v2, off offset:256
	s_or_b32 exec_lo, exec_lo, s0
	s_delay_alu instid0(SALU_CYCLE_1)
	s_mov_b32 s0, exec_lo
	v_cmpx_gt_i32_e64 s25, v49
	s_cbranch_execz .LBB9_45
.LBB9_62:
	v_add_co_u32 v0, vcc_lo, v16, v35
	v_add_co_ci_u32_e32 v1, vcc_lo, 0, v17, vcc_lo
	v_mul_f32_e32 v2, s27, v3
	global_store_b32 v[0:1], v2, off offset:384
	s_or_b32 exec_lo, exec_lo, s0
	s_delay_alu instid0(SALU_CYCLE_1)
	s_mov_b32 s0, exec_lo
	v_cmpx_gt_i32_e64 s25, v48
	s_cbranch_execz .LBB9_46
.LBB9_63:
	v_add_co_u32 v0, vcc_lo, v16, v35
	v_add_co_ci_u32_e32 v1, vcc_lo, 0, v17, vcc_lo
	v_mul_f32_e32 v2, s27, v4
	global_store_b32 v[0:1], v2, off offset:512
	s_or_b32 exec_lo, exec_lo, s0
	s_delay_alu instid0(SALU_CYCLE_1)
	s_mov_b32 s0, exec_lo
	v_cmpx_gt_i32_e64 s25, v47
	s_cbranch_execz .LBB9_47
.LBB9_64:
	v_add_co_u32 v0, vcc_lo, v16, v35
	v_add_co_ci_u32_e32 v1, vcc_lo, 0, v17, vcc_lo
	v_mul_f32_e32 v2, s27, v5
	global_store_b32 v[0:1], v2, off offset:640
	s_or_b32 exec_lo, exec_lo, s0
	s_delay_alu instid0(SALU_CYCLE_1)
	s_mov_b32 s0, exec_lo
	v_cmpx_gt_i32_e64 s25, v46
	s_cbranch_execz .LBB9_48
.LBB9_65:
	v_add_co_u32 v0, vcc_lo, v16, v35
	v_add_co_ci_u32_e32 v1, vcc_lo, 0, v17, vcc_lo
	v_mul_f32_e32 v2, s27, v6
	global_store_b32 v[0:1], v2, off offset:768
	s_or_b32 exec_lo, exec_lo, s0
	s_delay_alu instid0(SALU_CYCLE_1)
	s_mov_b32 s0, exec_lo
	v_cmpx_gt_i32_e64 s25, v45
	s_cbranch_execz .LBB9_49
.LBB9_66:
	v_add_co_u32 v0, vcc_lo, v16, v35
	v_add_co_ci_u32_e32 v1, vcc_lo, 0, v17, vcc_lo
	v_mul_f32_e32 v2, s27, v7
	global_store_b32 v[0:1], v2, off offset:896
	s_or_b32 exec_lo, exec_lo, s0
	s_delay_alu instid0(SALU_CYCLE_1)
	s_mov_b32 s0, exec_lo
	v_cmpx_gt_i32_e64 s25, v44
	s_cbranch_execz .LBB9_50
.LBB9_67:
	v_add_co_u32 v0, vcc_lo, v16, v35
	v_add_co_ci_u32_e32 v1, vcc_lo, 0, v17, vcc_lo
	v_mul_f32_e32 v2, s27, v8
	global_store_b32 v[0:1], v2, off offset:1024
	s_or_b32 exec_lo, exec_lo, s0
	s_delay_alu instid0(SALU_CYCLE_1)
	s_mov_b32 s0, exec_lo
	v_cmpx_gt_i32_e64 s25, v43
	s_cbranch_execz .LBB9_51
.LBB9_68:
	v_add_co_u32 v0, vcc_lo, v16, v35
	v_add_co_ci_u32_e32 v1, vcc_lo, 0, v17, vcc_lo
	v_mul_f32_e32 v2, s27, v9
	global_store_b32 v[0:1], v2, off offset:1152
	s_or_b32 exec_lo, exec_lo, s0
	s_delay_alu instid0(SALU_CYCLE_1)
	s_mov_b32 s0, exec_lo
	v_cmpx_gt_i32_e64 s25, v42
	s_cbranch_execz .LBB9_52
.LBB9_69:
	v_add_co_u32 v0, vcc_lo, v16, v35
	v_add_co_ci_u32_e32 v1, vcc_lo, 0, v17, vcc_lo
	v_mul_f32_e32 v2, s27, v10
	global_store_b32 v[0:1], v2, off offset:1280
	s_or_b32 exec_lo, exec_lo, s0
	s_delay_alu instid0(SALU_CYCLE_1)
	s_mov_b32 s0, exec_lo
	v_cmpx_gt_i32_e64 s25, v41
	s_cbranch_execz .LBB9_53
.LBB9_70:
	v_add_co_u32 v0, vcc_lo, v16, v35
	v_add_co_ci_u32_e32 v1, vcc_lo, 0, v17, vcc_lo
	v_mul_f32_e32 v2, s27, v11
	global_store_b32 v[0:1], v2, off offset:1408
	s_or_b32 exec_lo, exec_lo, s0
	s_delay_alu instid0(SALU_CYCLE_1)
	s_mov_b32 s0, exec_lo
	v_cmpx_gt_i32_e64 s25, v40
	s_cbranch_execz .LBB9_54
.LBB9_71:
	v_add_co_u32 v0, vcc_lo, v16, v35
	v_add_co_ci_u32_e32 v1, vcc_lo, 0, v17, vcc_lo
	v_mul_f32_e32 v2, s27, v12
	global_store_b32 v[0:1], v2, off offset:1536
	s_or_b32 exec_lo, exec_lo, s0
	s_delay_alu instid0(SALU_CYCLE_1)
	s_mov_b32 s0, exec_lo
	v_cmpx_gt_i32_e64 s25, v39
	s_cbranch_execz .LBB9_55
.LBB9_72:
	v_add_co_u32 v0, vcc_lo, v16, v35
	v_add_co_ci_u32_e32 v1, vcc_lo, 0, v17, vcc_lo
	v_mul_f32_e32 v2, s27, v13
	global_store_b32 v[0:1], v2, off offset:1664
	s_or_b32 exec_lo, exec_lo, s0
	s_delay_alu instid0(SALU_CYCLE_1)
	s_mov_b32 s0, exec_lo
	v_cmpx_gt_i32_e64 s25, v38
	s_cbranch_execz .LBB9_56
.LBB9_73:
	v_add_co_u32 v0, vcc_lo, v16, v35
	v_add_co_ci_u32_e32 v1, vcc_lo, 0, v17, vcc_lo
	v_mul_f32_e32 v2, s27, v14
	global_store_b32 v[0:1], v2, off offset:1792
	s_or_b32 exec_lo, exec_lo, s0
	v_cmp_gt_i32_e32 vcc_lo, s25, v37
	s_and_b32 exec_lo, exec_lo, vcc_lo
	s_cbranch_execnz .LBB9_57
	s_branch .LBB9_58
	.section	.rodata,"a",@progbits
	.p2align	6, 0x0
	.amdhsa_kernel _Z13topk_moe_cudaILi512ELb1EEvPKfPfPiS2_iiff15topk_moe_config
		.amdhsa_group_segment_fixed_size 0
		.amdhsa_private_segment_fixed_size 0
		.amdhsa_kernarg_size 312
		.amdhsa_user_sgpr_count 15
		.amdhsa_user_sgpr_dispatch_ptr 0
		.amdhsa_user_sgpr_queue_ptr 0
		.amdhsa_user_sgpr_kernarg_segment_ptr 1
		.amdhsa_user_sgpr_dispatch_id 0
		.amdhsa_user_sgpr_private_segment_size 0
		.amdhsa_wavefront_size32 1
		.amdhsa_uses_dynamic_stack 0
		.amdhsa_enable_private_segment 0
		.amdhsa_system_sgpr_workgroup_id_x 1
		.amdhsa_system_sgpr_workgroup_id_y 0
		.amdhsa_system_sgpr_workgroup_id_z 0
		.amdhsa_system_sgpr_workgroup_info 0
		.amdhsa_system_vgpr_workitem_id 1
		.amdhsa_next_free_vgpr 92
		.amdhsa_next_free_sgpr 28
		.amdhsa_reserve_vcc 1
		.amdhsa_float_round_mode_32 0
		.amdhsa_float_round_mode_16_64 0
		.amdhsa_float_denorm_mode_32 3
		.amdhsa_float_denorm_mode_16_64 3
		.amdhsa_dx10_clamp 1
		.amdhsa_ieee_mode 1
		.amdhsa_fp16_overflow 0
		.amdhsa_workgroup_processor_mode 1
		.amdhsa_memory_ordered 1
		.amdhsa_forward_progress 0
		.amdhsa_shared_vgpr_count 0
		.amdhsa_exception_fp_ieee_invalid_op 0
		.amdhsa_exception_fp_denorm_src 0
		.amdhsa_exception_fp_ieee_div_zero 0
		.amdhsa_exception_fp_ieee_overflow 0
		.amdhsa_exception_fp_ieee_underflow 0
		.amdhsa_exception_fp_ieee_inexact 0
		.amdhsa_exception_int_div_zero 0
	.end_amdhsa_kernel
	.section	.text._Z13topk_moe_cudaILi512ELb1EEvPKfPfPiS2_iiff15topk_moe_config,"axG",@progbits,_Z13topk_moe_cudaILi512ELb1EEvPKfPfPiS2_iiff15topk_moe_config,comdat
.Lfunc_end9:
	.size	_Z13topk_moe_cudaILi512ELb1EEvPKfPfPiS2_iiff15topk_moe_config, .Lfunc_end9-_Z13topk_moe_cudaILi512ELb1EEvPKfPfPiS2_iiff15topk_moe_config
                                        ; -- End function
	.section	.AMDGPU.csdata,"",@progbits
; Kernel info:
; codeLenInByte = 12848
; NumSgprs: 30
; NumVgprs: 92
; ScratchSize: 0
; MemoryBound: 0
; FloatMode: 240
; IeeeMode: 1
; LDSByteSize: 0 bytes/workgroup (compile time only)
; SGPRBlocks: 3
; VGPRBlocks: 11
; NumSGPRsForWavesPerEU: 30
; NumVGPRsForWavesPerEU: 92
; Occupancy: 16
; WaveLimiterHint : 1
; COMPUTE_PGM_RSRC2:SCRATCH_EN: 0
; COMPUTE_PGM_RSRC2:USER_SGPR: 15
; COMPUTE_PGM_RSRC2:TRAP_HANDLER: 0
; COMPUTE_PGM_RSRC2:TGID_X_EN: 1
; COMPUTE_PGM_RSRC2:TGID_Y_EN: 0
; COMPUTE_PGM_RSRC2:TGID_Z_EN: 0
; COMPUTE_PGM_RSRC2:TIDIG_COMP_CNT: 1
	.section	.text._Z13topk_moe_cudaILi576ELb1EEvPKfPfPiS2_iiff15topk_moe_config,"axG",@progbits,_Z13topk_moe_cudaILi576ELb1EEvPKfPfPiS2_iiff15topk_moe_config,comdat
	.protected	_Z13topk_moe_cudaILi576ELb1EEvPKfPfPiS2_iiff15topk_moe_config ; -- Begin function _Z13topk_moe_cudaILi576ELb1EEvPKfPfPiS2_iiff15topk_moe_config
	.globl	_Z13topk_moe_cudaILi576ELb1EEvPKfPfPiS2_iiff15topk_moe_config
	.p2align	8
	.type	_Z13topk_moe_cudaILi576ELb1EEvPKfPfPiS2_iiff15topk_moe_config,@function
_Z13topk_moe_cudaILi576ELb1EEvPKfPfPiS2_iiff15topk_moe_config: ; @_Z13topk_moe_cudaILi576ELb1EEvPKfPfPiS2_iiff15topk_moe_config
; %bb.0:
	s_clause 0x1
	s_load_b32 s2, s[0:1], 0x44
	s_load_b128 s[56:59], s[0:1], 0x20
	v_bfe_u32 v1, v0, 10, 10
	s_waitcnt lgkmcnt(0)
	s_lshr_b32 s2, s2, 16
	s_delay_alu instid0(VALU_DEP_1) | instid1(SALU_CYCLE_1)
	v_mad_u64_u32 v[16:17], null, s15, s2, v[1:2]
	s_mov_b32 s2, exec_lo
	s_delay_alu instid0(VALU_DEP_1)
	v_cmpx_gt_i32_e64 s56, v16
	s_cbranch_execz .LBB10_81
; %bb.1:
	s_load_b256 s[48:55], s[0:1], 0x0
	v_mul_lo_u32 v1, 0x240, v16
	v_and_b32_e32 v20, 0x3ff, v0
	s_mov_b32 s4, 0
	s_delay_alu instid0(VALU_DEP_1) | instskip(NEXT) | instid1(VALU_DEP_3)
	v_lshlrev_b32_e32 v19, 2, v20
	v_ashrrev_i32_e32 v2, 31, v1
	s_delay_alu instid0(VALU_DEP_1) | instskip(SKIP_2) | instid1(VALU_DEP_2)
	v_lshlrev_b64 v[0:1], 2, v[1:2]
	v_mov_b32_e32 v2, 0
	s_waitcnt lgkmcnt(0)
	v_add_co_u32 v3, vcc_lo, s48, v0
	s_delay_alu instid0(VALU_DEP_3) | instskip(NEXT) | instid1(VALU_DEP_2)
	v_add_co_ci_u32_e32 v4, vcc_lo, s49, v1, vcc_lo
	v_add_co_u32 v25, vcc_lo, v3, v19
	s_delay_alu instid0(VALU_DEP_2)
	v_add_co_ci_u32_e32 v26, vcc_lo, 0, v4, vcc_lo
	global_load_u16 v3, v2, s[0:1] offset:48
	s_clause 0x11
	global_load_b32 v24, v[25:26], off
	global_load_b32 v23, v[25:26], off offset:128
	global_load_b32 v22, v[25:26], off offset:256
	;; [unrolled: 1-line block ×17, first 2 shown]
	s_load_b32 s0, s[0:1], 0x30
	s_waitcnt lgkmcnt(0)
	s_bitcmp1_b32 s0, 16
	s_cselect_b32 s18, -1, 0
	s_delay_alu instid0(SALU_CYCLE_1)
	s_and_b32 vcc_lo, exec_lo, s18
	s_cbranch_vccnz .LBB10_7
; %bb.2:
	s_waitcnt vmcnt(18)
	v_and_b32_e32 v25, 1, v3
	s_delay_alu instid0(VALU_DEP_1)
	v_cmp_eq_u32_e32 vcc_lo, 0, v25
	s_cbranch_vccz .LBB10_4
; %bb.3:
	s_waitcnt vmcnt(16)
	v_max3_f32 v25, v24, 0xff800000, v23
	v_mbcnt_lo_u32_b32 v29, -1, 0
	s_waitcnt vmcnt(14)
	s_delay_alu instid0(VALU_DEP_2) | instskip(NEXT) | instid1(VALU_DEP_2)
	v_max3_f32 v25, v25, v22, v21
	v_xor_b32_e32 v26, 16, v29
	v_xor_b32_e32 v28, 8, v29
	s_waitcnt vmcnt(12)
	s_delay_alu instid0(VALU_DEP_3) | instskip(NEXT) | instid1(VALU_DEP_3)
	v_max3_f32 v25, v25, v18, v17
	v_cmp_gt_i32_e32 vcc_lo, 32, v26
	s_waitcnt vmcnt(10)
	s_delay_alu instid0(VALU_DEP_2) | instskip(SKIP_3) | instid1(VALU_DEP_3)
	v_max3_f32 v25, v25, v15, v14
	v_cndmask_b32_e32 v26, v29, v26, vcc_lo
	v_cmp_gt_i32_e32 vcc_lo, 32, v28
	s_waitcnt vmcnt(8)
	v_max3_f32 v25, v25, v13, v12
	v_cndmask_b32_e32 v28, v29, v28, vcc_lo
	s_waitcnt vmcnt(6)
	s_delay_alu instid0(VALU_DEP_2) | instskip(SKIP_1) | instid1(VALU_DEP_1)
	v_max3_f32 v25, v25, v11, v10
	s_waitcnt vmcnt(4)
	v_max3_f32 v25, v25, v9, v8
	s_waitcnt vmcnt(2)
	s_delay_alu instid0(VALU_DEP_1) | instskip(SKIP_2) | instid1(VALU_DEP_2)
	v_max3_f32 v27, v25, v7, v6
	v_lshlrev_b32_e32 v25, 2, v26
	s_waitcnt vmcnt(0)
	v_max3_f32 v27, v27, v5, v4
	ds_bpermute_b32 v26, v25, v27
	s_waitcnt lgkmcnt(0)
	v_max_f32_e32 v30, v26, v26
	v_lshlrev_b32_e32 v26, 2, v28
	s_delay_alu instid0(VALU_DEP_2)
	v_max_f32_e32 v28, v27, v30
	v_xor_b32_e32 v30, 4, v29
	ds_bpermute_b32 v27, v26, v28
	v_cmp_gt_i32_e32 vcc_lo, 32, v30
	s_waitcnt lgkmcnt(0)
	v_dual_cndmask_b32 v30, v29, v30 :: v_dual_max_f32 v31, v27, v27
	s_delay_alu instid0(VALU_DEP_1)
	v_dual_max_f32 v30, v28, v31 :: v_dual_lshlrev_b32 v27, 2, v30
	v_xor_b32_e32 v31, 2, v29
	ds_bpermute_b32 v28, v27, v30
	v_cmp_gt_i32_e32 vcc_lo, 32, v31
	s_waitcnt lgkmcnt(0)
	v_dual_cndmask_b32 v31, v29, v31 :: v_dual_max_f32 v32, v28, v28
	s_delay_alu instid0(VALU_DEP_1) | instskip(NEXT) | instid1(VALU_DEP_2)
	v_lshlrev_b32_e32 v28, 2, v31
	v_max_f32_e32 v30, v30, v32
	v_xor_b32_e32 v32, 1, v29
	ds_bpermute_b32 v31, v28, v30
	v_cmp_gt_i32_e32 vcc_lo, 32, v32
	v_cndmask_b32_e32 v29, v29, v32, vcc_lo
	s_delay_alu instid0(VALU_DEP_1) | instskip(SKIP_2) | instid1(VALU_DEP_1)
	v_lshlrev_b32_e32 v29, 2, v29
	s_waitcnt lgkmcnt(0)
	v_max_f32_e32 v31, v31, v31
	v_max_f32_e32 v30, v30, v31
	ds_bpermute_b32 v31, v29, v30
	s_waitcnt lgkmcnt(0)
	v_max_f32_e32 v31, v31, v31
	s_delay_alu instid0(VALU_DEP_1) | instskip(NEXT) | instid1(VALU_DEP_1)
	v_max_f32_e32 v47, v30, v31
	v_sub_f32_e32 v30, v24, v47
	s_delay_alu instid0(VALU_DEP_1) | instskip(SKIP_2) | instid1(VALU_DEP_3)
	v_dual_mul_f32 v48, 0x3fb8aa3b, v30 :: v_dual_sub_f32 v31, v23, v47
	v_sub_f32_e32 v45, v6, v47
	v_sub_f32_e32 v32, v22, v47
	v_rndne_f32_e32 v67, v48
	s_delay_alu instid0(VALU_DEP_4) | instskip(NEXT) | instid1(VALU_DEP_4)
	v_mul_f32_e32 v49, 0x3fb8aa3b, v31
	v_mul_f32_e32 v63, 0x3fb8aa3b, v45
	s_delay_alu instid0(VALU_DEP_4) | instskip(NEXT) | instid1(VALU_DEP_3)
	v_dual_sub_f32 v33, v21, v47 :: v_dual_mul_f32 v50, 0x3fb8aa3b, v32
	v_fma_f32 v68, 0x3fb8aa3b, v31, -v49
	v_rndne_f32_e32 v69, v49
	s_delay_alu instid0(VALU_DEP_3) | instskip(NEXT) | instid1(VALU_DEP_4)
	v_dual_sub_f32 v34, v18, v47 :: v_dual_mul_f32 v51, 0x3fb8aa3b, v33
	v_fma_f32 v70, 0x3fb8aa3b, v32, -v50
	s_delay_alu instid0(VALU_DEP_3) | instskip(SKIP_1) | instid1(VALU_DEP_4)
	v_dual_fmac_f32 v68, 0x32a5705f, v31 :: v_dual_sub_f32 v49, v49, v69
	v_sub_f32_e32 v36, v15, v47
	v_fma_f32 v72, 0x3fb8aa3b, v33, -v51
	v_rndne_f32_e32 v73, v51
	v_dual_sub_f32 v35, v17, v47 :: v_dual_mul_f32 v52, 0x3fb8aa3b, v34
	v_add_f32_e32 v49, v49, v68
	s_delay_alu instid0(VALU_DEP_3) | instskip(SKIP_2) | instid1(VALU_DEP_4)
	v_dual_sub_f32 v38, v13, v47 :: v_dual_sub_f32 v51, v51, v73
	v_rndne_f32_e32 v71, v50
	v_fmac_f32_e32 v72, 0x32a5705f, v33
	v_exp_f32_e32 v49, v49
	v_cvt_i32_f32_e32 v69, v69
	v_dual_sub_f32 v37, v14, v47 :: v_dual_mul_f32 v54, 0x3fb8aa3b, v36
	s_delay_alu instid0(VALU_DEP_3) | instskip(SKIP_1) | instid1(VALU_DEP_3)
	v_dual_sub_f32 v50, v50, v71 :: v_dual_add_f32 v51, v51, v72
	v_fma_f32 v74, 0x3fb8aa3b, v34, -v52
	v_mul_f32_e32 v55, 0x3fb8aa3b, v37
	v_rndne_f32_e32 v75, v52
	v_rndne_f32_e32 v97, v63
	s_delay_alu instid0(TRANS32_DEP_1)
	v_ldexp_f32 v49, v49, v69
	v_fmac_f32_e32 v70, 0x32a5705f, v32
	v_mul_f32_e32 v53, 0x3fb8aa3b, v35
	v_fma_f32 v80, 0x3fb8aa3b, v37, -v55
	v_rndne_f32_e32 v81, v55
	v_sub_f32_e32 v42, v9, v47
	v_add_f32_e32 v50, v50, v70
	v_rndne_f32_e32 v77, v53
	v_sub_f32_e32 v40, v11, v47
	v_fma_f32 v76, 0x3fb8aa3b, v35, -v53
	v_sub_f32_e32 v55, v55, v81
	v_dual_sub_f32 v43, v8, v47 :: v_dual_mul_f32 v60, 0x3fb8aa3b, v42
	v_sub_f32_e32 v53, v53, v77
	v_dual_sub_f32 v41, v10, v47 :: v_dual_mul_f32 v58, 0x3fb8aa3b, v40
	;; [unrolled: 2-line block ×3, first 2 shown]
	s_delay_alu instid0(VALU_DEP_3)
	v_mul_f32_e32 v59, 0x3fb8aa3b, v41
	v_fma_f32 v66, 0x3fb8aa3b, v30, -v48
	v_sub_f32_e32 v48, v48, v67
	v_cvt_i32_f32_e32 v67, v67
	v_mul_f32_e32 v57, 0x3fb8aa3b, v39
	v_fma_f32 v88, 0x3fb8aa3b, v41, -v59
	v_rndne_f32_e32 v89, v59
	v_sub_f32_e32 v46, v5, v47
	v_exp_f32_e32 v50, v50
	v_cmp_ngt_f32_e32 vcc_lo, 0xc2ce8ed0, v30
	v_fmac_f32_e32 v88, 0x32a5705f, v41
	v_sub_f32_e32 v59, v59, v89
	v_fmac_f32_e32 v80, 0x32a5705f, v37
	v_mul_f32_e32 v64, 0x3fb8aa3b, v46
	v_rndne_f32_e32 v85, v57
	v_sub_f32_e32 v44, v7, v47
	v_dual_add_f32 v59, v59, v88 :: v_dual_fmac_f32 v74, 0x32a5705f, v34
	v_add_f32_e32 v55, v55, v80
	v_mul_f32_e32 v61, 0x3fb8aa3b, v43
	v_sub_f32_e32 v47, v4, v47
	v_cvt_i32_f32_e32 v71, v71
	v_add_f32_e32 v52, v52, v74
	v_fma_f32 v98, 0x3fb8aa3b, v46, -v64
	v_rndne_f32_e32 v93, v61
	v_fmac_f32_e32 v66, 0x32a5705f, v30
	v_fma_f32 v92, 0x3fb8aa3b, v43, -v61
	v_ldexp_f32 v50, v50, v71
	v_exp_f32_e32 v51, v51
	s_delay_alu instid0(VALU_DEP_3)
	v_dual_sub_f32 v61, v61, v93 :: v_dual_add_f32 v48, v48, v66
	v_rndne_f32_e32 v66, v64
	v_rndne_f32_e32 v79, v54
	v_cvt_i32_f32_e32 v73, v73
	v_fma_f32 v78, 0x3fb8aa3b, v36, -v54
	v_exp_f32_e32 v48, v48
	v_sub_f32_e32 v64, v64, v66
	v_fma_f32 v84, 0x3fb8aa3b, v39, -v57
	v_dual_sub_f32 v57, v57, v85 :: v_dual_mul_f32 v62, 0x3fb8aa3b, v44
	v_fma_f32 v96, 0x3fb8aa3b, v45, -v63
	v_sub_f32_e32 v63, v63, v97
	v_exp_f32_e32 v52, v52
	v_ldexp_f32 v51, v51, v73
	v_cvt_i32_f32_e32 v75, v75
	s_delay_alu instid0(TRANS32_DEP_2)
	v_ldexp_f32 v48, v48, v67
	v_fmac_f32_e32 v96, 0x32a5705f, v45
	v_fmac_f32_e32 v84, 0x32a5705f, v39
	v_rndne_f32_e32 v83, v56
	v_cvt_i32_f32_e32 v77, v77
	v_cndmask_b32_e32 v48, 0, v48, vcc_lo
	v_cmp_ngt_f32_e32 vcc_lo, 0xc2ce8ed0, v31
	v_dual_add_f32 v63, v63, v96 :: v_dual_fmac_f32 v76, 0x32a5705f, v35
	v_add_f32_e32 v57, v57, v84
	v_ldexp_f32 v52, v52, v75
	v_cndmask_b32_e32 v49, 0, v49, vcc_lo
	v_cmp_ngt_f32_e32 vcc_lo, 0xc2ce8ed0, v32
	v_add_f32_e32 v53, v53, v76
	v_fma_f32 v82, 0x3fb8aa3b, v38, -v56
	v_fma_f32 v86, 0x3fb8aa3b, v40, -v58
	v_fmac_f32_e32 v92, 0x32a5705f, v43
	v_cndmask_b32_e32 v50, 0, v50, vcc_lo
	v_cmp_nlt_f32_e32 vcc_lo, 0x42b17218, v30
	v_exp_f32_e32 v53, v53
	s_delay_alu instid0(VALU_DEP_3)
	v_dual_fmac_f32 v82, 0x32a5705f, v38 :: v_dual_add_f32 v61, v61, v92
	v_exp_f32_e32 v55, v55
	v_cndmask_b32_e32 v30, 0x7f800000, v48, vcc_lo
	v_cmp_nlt_f32_e32 vcc_lo, 0x42b17218, v31
	v_sub_f32_e32 v54, v54, v79
	v_cvt_i32_f32_e32 v79, v79
	v_rndne_f32_e32 v87, v58
	v_cvt_i32_f32_e32 v81, v81
	v_cndmask_b32_e32 v31, 0x7f800000, v49, vcc_lo
	v_cmp_ngt_f32_e32 vcc_lo, 0xc2ce8ed0, v33
	v_fmac_f32_e32 v78, 0x32a5705f, v36
	v_ldexp_f32 v53, v53, v77
	v_ldexp_f32 v55, v55, v81
	v_add_f32_e32 v49, v30, v31
	v_cndmask_b32_e32 v48, 0, v51, vcc_lo
	v_cmp_nlt_f32_e32 vcc_lo, 0x42b17218, v32
	v_dual_mul_f32 v65, 0x3fb8aa3b, v47 :: v_dual_add_f32 v54, v54, v78
	v_exp_f32_e32 v57, v57
	v_rndne_f32_e32 v91, v60
	v_cndmask_b32_e32 v32, 0x7f800000, v50, vcc_lo
	v_cmp_ngt_f32_e32 vcc_lo, 0xc2ce8ed0, v34
	v_exp_f32_e32 v54, v54
	v_cvt_i32_f32_e32 v85, v85
	v_fma_f32 v90, 0x3fb8aa3b, v42, -v60
	v_exp_f32_e32 v59, v59
	v_cndmask_b32_e32 v50, 0, v52, vcc_lo
	v_cmp_nlt_f32_e32 vcc_lo, 0x42b17218, v33
	v_sub_f32_e32 v56, v56, v83
	v_cvt_i32_f32_e32 v83, v83
	v_ldexp_f32 v57, v57, v85
	v_rndne_f32_e32 v95, v62
	v_cndmask_b32_e32 v33, 0x7f800000, v48, vcc_lo
	v_cmp_ngt_f32_e32 vcc_lo, 0xc2ce8ed0, v35
	v_fmac_f32_e32 v86, 0x32a5705f, v40
	v_add_f32_e32 v48, v32, v49
	v_ldexp_f32 v54, v54, v79
	v_dual_add_f32 v56, v56, v82 :: v_dual_cndmask_b32 v49, 0, v53
	v_cmp_nlt_f32_e32 vcc_lo, 0x42b17218, v34
	v_cvt_i32_f32_e32 v89, v89
	v_fma_f32 v94, 0x3fb8aa3b, v44, -v62
	s_delay_alu instid0(VALU_DEP_4)
	v_exp_f32_e32 v56, v56
	v_fma_f32 v68, 0x3fb8aa3b, v47, -v65
	v_cndmask_b32_e32 v34, 0x7f800000, v50, vcc_lo
	v_cmp_ngt_f32_e32 vcc_lo, 0xc2ce8ed0, v36
	v_ldexp_f32 v59, v59, v89
	v_rndne_f32_e32 v70, v65
	v_fmac_f32_e32 v68, 0x32a5705f, v47
	v_exp_f32_e32 v61, v61
	v_cndmask_b32_e32 v50, 0, v54, vcc_lo
	v_cmp_nlt_f32_e32 vcc_lo, 0x42b17218, v35
	v_sub_f32_e32 v58, v58, v87
	v_ldexp_f32 v56, v56, v83
	v_cvt_i32_f32_e32 v87, v87
	v_sub_f32_e32 v65, v65, v70
	v_cndmask_b32_e32 v35, 0x7f800000, v49, vcc_lo
	v_cmp_ngt_f32_e32 vcc_lo, 0xc2ce8ed0, v37
	v_add_f32_e32 v58, v58, v86
	v_add_f32_e32 v48, v33, v48
	v_cvt_i32_f32_e32 v93, v93
	v_add_f32_e32 v65, v65, v68
	v_cndmask_b32_e32 v49, 0, v55, vcc_lo
	v_cmp_nlt_f32_e32 vcc_lo, 0x42b17218, v36
	v_exp_f32_e32 v58, v58
	v_add_f32_e32 v48, v34, v48
	v_exp_f32_e32 v65, v65
	v_ldexp_f32 v61, v61, v93
	v_cndmask_b32_e32 v36, 0x7f800000, v50, vcc_lo
	v_cmp_ngt_f32_e32 vcc_lo, 0xc2ce8ed0, v38
	v_add_f32_e32 v48, v35, v48
	v_cvt_i32_f32_e32 v70, v70
	v_exp_f32_e32 v63, v63
	v_cvt_i32_f32_e32 v97, v97
	v_cndmask_b32_e32 v50, 0, v56, vcc_lo
	v_cmp_nlt_f32_e32 vcc_lo, 0x42b17218, v37
	v_sub_f32_e32 v60, v60, v91
	v_ldexp_f32 v58, v58, v87
	v_cvt_i32_f32_e32 v91, v91
	v_dual_add_f32 v48, v36, v48 :: v_dual_cndmask_b32 v37, 0x7f800000, v49
	v_cmp_ngt_f32_e32 vcc_lo, 0xc2ce8ed0, v39
	v_fmac_f32_e32 v90, 0x32a5705f, v42
	v_ldexp_f32 v65, v65, v70
	v_fmac_f32_e32 v98, 0x32a5705f, v46
	v_dual_add_f32 v48, v37, v48 :: v_dual_cndmask_b32 v49, 0, v57
	v_cmp_nlt_f32_e32 vcc_lo, 0x42b17218, v38
	v_add_f32_e32 v60, v60, v90
	s_delay_alu instid0(VALU_DEP_4)
	v_add_f32_e32 v64, v64, v98
	v_ldexp_f32 v63, v63, v97
	v_cvt_i32_f32_e32 v66, v66
	v_cndmask_b32_e32 v38, 0x7f800000, v50, vcc_lo
	v_cmp_ngt_f32_e32 vcc_lo, 0xc2ce8ed0, v40
	v_exp_f32_e32 v60, v60
	v_exp_f32_e32 v64, v64
	s_delay_alu instid0(VALU_DEP_2)
	v_add_f32_e32 v48, v38, v48
	v_cndmask_b32_e32 v50, 0, v58, vcc_lo
	v_cmp_nlt_f32_e32 vcc_lo, 0x42b17218, v39
	v_sub_f32_e32 v62, v62, v95
	v_cvt_i32_f32_e32 v95, v95
	v_cndmask_b32_e32 v39, 0x7f800000, v49, vcc_lo
	v_cmp_ngt_f32_e32 vcc_lo, 0xc2ce8ed0, v41
	v_fmac_f32_e32 v94, 0x32a5705f, v44
	v_ldexp_f32 v60, v60, v91
	v_ldexp_f32 v64, v64, v66
	v_dual_add_f32 v48, v39, v48 :: v_dual_cndmask_b32 v49, 0, v59
	v_cmp_nlt_f32_e32 vcc_lo, 0x42b17218, v40
	v_add_f32_e32 v62, v62, v94
	v_cndmask_b32_e32 v40, 0x7f800000, v50, vcc_lo
	v_cmp_ngt_f32_e32 vcc_lo, 0xc2ce8ed0, v42
	s_delay_alu instid0(VALU_DEP_3) | instskip(NEXT) | instid1(VALU_DEP_2)
	v_exp_f32_e32 v62, v62
	v_add_f32_e32 v48, v40, v48
	v_cndmask_b32_e32 v50, 0, v60, vcc_lo
	v_cmp_nlt_f32_e32 vcc_lo, 0x42b17218, v41
	v_cndmask_b32_e32 v41, 0x7f800000, v49, vcc_lo
	v_cmp_ngt_f32_e32 vcc_lo, 0xc2ce8ed0, v43
	s_waitcnt_depctr 0xfff
	v_ldexp_f32 v62, v62, v95
	v_dual_add_f32 v48, v41, v48 :: v_dual_cndmask_b32 v49, 0, v61
	v_cmp_nlt_f32_e32 vcc_lo, 0x42b17218, v42
	v_cndmask_b32_e32 v42, 0x7f800000, v50, vcc_lo
	v_cmp_ngt_f32_e32 vcc_lo, 0xc2ce8ed0, v44
	s_delay_alu instid0(VALU_DEP_2) | instskip(SKIP_4) | instid1(VALU_DEP_2)
	v_add_f32_e32 v48, v42, v48
	v_cndmask_b32_e32 v50, 0, v62, vcc_lo
	v_cmp_nlt_f32_e32 vcc_lo, 0x42b17218, v43
	v_cndmask_b32_e32 v43, 0x7f800000, v49, vcc_lo
	v_cmp_ngt_f32_e32 vcc_lo, 0xc2ce8ed0, v45
	v_dual_add_f32 v48, v43, v48 :: v_dual_cndmask_b32 v49, 0, v63
	v_cmp_nlt_f32_e32 vcc_lo, 0x42b17218, v44
	v_cndmask_b32_e32 v44, 0x7f800000, v50, vcc_lo
	v_cmp_ngt_f32_e32 vcc_lo, 0xc2ce8ed0, v46
	s_delay_alu instid0(VALU_DEP_2) | instskip(SKIP_4) | instid1(VALU_DEP_2)
	v_add_f32_e32 v48, v44, v48
	v_cndmask_b32_e32 v50, 0, v64, vcc_lo
	v_cmp_nlt_f32_e32 vcc_lo, 0x42b17218, v45
	v_cndmask_b32_e32 v45, 0x7f800000, v49, vcc_lo
	v_cmp_ngt_f32_e32 vcc_lo, 0xc2ce8ed0, v47
	v_dual_add_f32 v48, v45, v48 :: v_dual_cndmask_b32 v49, 0, v65
	v_cmp_nlt_f32_e32 vcc_lo, 0x42b17218, v46
	v_cndmask_b32_e32 v46, 0x7f800000, v50, vcc_lo
	v_cmp_nlt_f32_e32 vcc_lo, 0x42b17218, v47
	s_delay_alu instid0(VALU_DEP_2) | instskip(NEXT) | instid1(VALU_DEP_1)
	v_dual_add_f32 v48, v46, v48 :: v_dual_cndmask_b32 v47, 0x7f800000, v49
	v_add_f32_e32 v48, v47, v48
	ds_bpermute_b32 v25, v25, v48
	s_waitcnt lgkmcnt(0)
	v_add_f32_e32 v25, v48, v25
	ds_bpermute_b32 v26, v26, v25
	s_waitcnt lgkmcnt(0)
	;; [unrolled: 3-line block ×5, first 2 shown]
	v_add_f32_e32 v25, v25, v26
	s_delay_alu instid0(VALU_DEP_1) | instskip(SKIP_1) | instid1(VALU_DEP_2)
	v_div_scale_f32 v26, null, v25, v25, 1.0
	v_div_scale_f32 v29, vcc_lo, 1.0, v25, 1.0
	v_rcp_f32_e32 v27, v26
	s_waitcnt_depctr 0xfff
	v_fma_f32 v28, -v26, v27, 1.0
	s_delay_alu instid0(VALU_DEP_1) | instskip(NEXT) | instid1(VALU_DEP_1)
	v_fmac_f32_e32 v27, v28, v27
	v_mul_f32_e32 v28, v29, v27
	s_delay_alu instid0(VALU_DEP_1) | instskip(NEXT) | instid1(VALU_DEP_1)
	v_fma_f32 v48, -v26, v28, v29
	v_fmac_f32_e32 v28, v48, v27
	s_delay_alu instid0(VALU_DEP_1) | instskip(NEXT) | instid1(VALU_DEP_1)
	v_fma_f32 v26, -v26, v28, v29
	v_div_fmas_f32 v26, v26, v27, v28
	s_delay_alu instid0(VALU_DEP_1) | instskip(NEXT) | instid1(VALU_DEP_1)
	v_div_fixup_f32 v48, v26, v25, 1.0
	v_mul_f32_e32 v25, v30, v48
	v_mul_f32_e32 v26, v31, v48
	;; [unrolled: 1-line block ×18, first 2 shown]
	s_cbranch_execz .LBB10_5
	s_branch .LBB10_6
.LBB10_4:
                                        ; implicit-def: $vgpr25
                                        ; implicit-def: $vgpr26
                                        ; implicit-def: $vgpr27
                                        ; implicit-def: $vgpr28
                                        ; implicit-def: $vgpr29
                                        ; implicit-def: $vgpr30
                                        ; implicit-def: $vgpr31
                                        ; implicit-def: $vgpr32
                                        ; implicit-def: $vgpr33
                                        ; implicit-def: $vgpr34
                                        ; implicit-def: $vgpr35
                                        ; implicit-def: $vgpr36
                                        ; implicit-def: $vgpr37
                                        ; implicit-def: $vgpr38
                                        ; implicit-def: $vgpr39
                                        ; implicit-def: $vgpr40
                                        ; implicit-def: $vgpr41
                                        ; implicit-def: $vgpr42
.LBB10_5:
	s_waitcnt vmcnt(16)
	v_dual_mul_f32 v25, 0xbfb8aa3b, v24 :: v_dual_mul_f32 v26, 0xbfb8aa3b, v23
	s_waitcnt vmcnt(14)
	v_dual_mul_f32 v27, 0xbfb8aa3b, v22 :: v_dual_mul_f32 v30, 0xbfb8aa3b, v21
	v_cmp_nlt_f32_e32 vcc_lo, 0x42ce8ed0, v24
	s_delay_alu instid0(VALU_DEP_3)
	v_rndne_f32_e32 v28, v25
	v_fma_f32 v29, 0xbfb8aa3b, v24, -v25
	v_rndne_f32_e32 v31, v26
	v_fma_f32 v32, 0xbfb8aa3b, v23, -v26
	v_rndne_f32_e32 v35, v30
	v_sub_f32_e32 v25, v25, v28
	s_delay_alu instid0(VALU_DEP_4) | instskip(NEXT) | instid1(VALU_DEP_4)
	v_dual_fmac_f32 v29, 0xb2a5705f, v24 :: v_dual_sub_f32 v26, v26, v31
	v_fmac_f32_e32 v32, 0xb2a5705f, v23
	s_waitcnt vmcnt(13)
	v_mul_f32_e32 v33, 0xbfb8aa3b, v18
	v_rndne_f32_e32 v34, v27
	v_add_f32_e32 v25, v25, v29
	v_fma_f32 v29, 0xbfb8aa3b, v22, -v27
	v_add_f32_e32 v26, v26, v32
	v_fma_f32 v32, 0xbfb8aa3b, v21, -v30
	v_sub_f32_e32 v30, v30, v35
	v_exp_f32_e32 v25, v25
	v_cvt_i32_f32_e32 v28, v28
	s_delay_alu instid0(VALU_DEP_3)
	v_dual_sub_f32 v27, v27, v34 :: v_dual_fmac_f32 v32, 0xb2a5705f, v21
	v_fmac_f32_e32 v29, 0xb2a5705f, v22
	v_exp_f32_e32 v26, v26
	v_rndne_f32_e32 v36, v33
	v_cmp_nlt_f32_e64 s0, 0x42ce8ed0, v21
	v_cmp_ngt_f32_e64 s1, 0xc2b17218, v21
	s_delay_alu instid0(TRANS32_DEP_2) | instskip(SKIP_1) | instid1(VALU_DEP_2)
	v_ldexp_f32 v25, v25, v28
	v_cvt_i32_f32_e32 v28, v34
	v_cndmask_b32_e32 v25, 0, v25, vcc_lo
	v_cmp_nlt_f32_e32 vcc_lo, 0x42ce8ed0, v23
	v_add_f32_e32 v27, v27, v29
	v_cvt_i32_f32_e32 v29, v31
	s_delay_alu instid0(VALU_DEP_1) | instskip(NEXT) | instid1(VALU_DEP_1)
	v_ldexp_f32 v26, v26, v29
	v_cndmask_b32_e32 v26, 0, v26, vcc_lo
	v_cmp_ngt_f32_e32 vcc_lo, 0xc2b17218, v24
	v_exp_f32_e32 v27, v27
	v_add_f32_e32 v29, v30, v32
	v_cvt_i32_f32_e32 v30, v35
	v_sub_f32_e32 v32, v33, v36
	v_cndmask_b32_e32 v24, 0x7f800000, v25, vcc_lo
	v_cmp_ngt_f32_e32 vcc_lo, 0xc2b17218, v23
	s_delay_alu instid0(VALU_DEP_2) | instskip(NEXT) | instid1(TRANS32_DEP_1)
	v_add_f32_e32 v24, 1.0, v24
	v_ldexp_f32 v25, v27, v28
	v_cndmask_b32_e32 v23, 0x7f800000, v26, vcc_lo
	v_exp_f32_e32 v26, v29
	v_cmp_nlt_f32_e32 vcc_lo, 0x42ce8ed0, v22
	v_div_scale_f32 v27, null, v24, v24, 1.0
	v_fma_f32 v29, 0xbfb8aa3b, v18, -v33
	s_delay_alu instid0(VALU_DEP_2) | instskip(SKIP_2) | instid1(VALU_DEP_1)
	v_rcp_f32_e32 v28, v27
	s_waitcnt_depctr 0xfff
	v_ldexp_f32 v26, v26, v30
	v_cndmask_b32_e64 v26, 0, v26, s0
	v_fma_f32 v30, -v27, v28, 1.0
	v_cndmask_b32_e32 v25, 0, v25, vcc_lo
	v_cmp_ngt_f32_e32 vcc_lo, 0xc2b17218, v22
	s_delay_alu instid0(VALU_DEP_4) | instskip(NEXT) | instid1(VALU_DEP_4)
	v_cndmask_b32_e64 v21, 0x7f800000, v26, s1
	v_dual_fmac_f32 v28, v30, v28 :: v_dual_add_f32 v23, 1.0, v23
	s_delay_alu instid0(VALU_DEP_4) | instskip(SKIP_1) | instid1(VALU_DEP_3)
	v_cndmask_b32_e32 v22, 0x7f800000, v25, vcc_lo
	v_div_scale_f32 v34, vcc_lo, 1.0, v24, 1.0
	v_div_scale_f32 v25, null, v23, v23, 1.0
	s_delay_alu instid0(VALU_DEP_3) | instskip(SKIP_1) | instid1(VALU_DEP_3)
	v_add_f32_e32 v22, 1.0, v22
	v_div_scale_f32 v30, s0, 1.0, v23, 1.0
	v_rcp_f32_e32 v31, v25
	s_delay_alu instid0(VALU_DEP_2) | instskip(SKIP_1) | instid1(VALU_DEP_2)
	v_div_scale_f32 v33, null, v22, v22, 1.0
	v_div_scale_f32 v40, s1, 1.0, v22, 1.0
	v_rcp_f32_e32 v35, v33
	s_waitcnt_depctr 0xfff
	v_fma_f32 v37, -v25, v31, 1.0
	s_delay_alu instid0(VALU_DEP_1) | instskip(SKIP_2) | instid1(VALU_DEP_2)
	v_fmac_f32_e32 v31, v37, v31
	v_fmac_f32_e32 v29, 0xb2a5705f, v18
	v_fma_f32 v26, -v33, v35, 1.0
	v_dual_mul_f32 v38, v30, v31 :: v_dual_add_f32 v29, v32, v29
	s_delay_alu instid0(VALU_DEP_2) | instskip(SKIP_1) | instid1(VALU_DEP_3)
	v_fmac_f32_e32 v35, v26, v35
	v_mul_f32_e32 v37, v34, v28
	v_fma_f32 v26, -v25, v38, v30
	s_delay_alu instid0(VALU_DEP_3) | instskip(NEXT) | instid1(VALU_DEP_3)
	v_mul_f32_e32 v32, v40, v35
	v_fma_f32 v39, -v27, v37, v34
	s_delay_alu instid0(VALU_DEP_1) | instskip(NEXT) | instid1(VALU_DEP_1)
	v_dual_fmac_f32 v38, v26, v31 :: v_dual_fmac_f32 v37, v39, v28
	v_fma_f32 v30, -v25, v38, v30
	s_delay_alu instid0(VALU_DEP_2) | instskip(SKIP_1) | instid1(VALU_DEP_1)
	v_fma_f32 v26, -v27, v37, v34
	v_exp_f32_e32 v27, v29
	v_div_fmas_f32 v26, v26, v28, v37
	v_cvt_i32_f32_e32 v28, v36
	s_mov_b32 vcc_lo, s0
	v_fma_f32 v36, -v33, v32, v40
	s_delay_alu instid0(VALU_DEP_3)
	v_div_fixup_f32 v25, v26, v24, 1.0
	s_waitcnt_depctr 0xfff
	v_ldexp_f32 v24, v27, v28
	s_waitcnt vmcnt(12)
	v_mul_f32_e32 v26, 0xbfb8aa3b, v17
	v_div_fmas_f32 v27, v30, v31, v38
	v_cmp_nlt_f32_e32 vcc_lo, 0x42ce8ed0, v18
	s_delay_alu instid0(VALU_DEP_3) | instskip(SKIP_4) | instid1(VALU_DEP_3)
	v_rndne_f32_e32 v28, v26
	v_fma_f32 v30, 0xbfb8aa3b, v17, -v26
	v_dual_cndmask_b32 v24, 0, v24 :: v_dual_add_f32 v21, 1.0, v21
	v_fmac_f32_e32 v32, v36, v35
	v_cmp_ngt_f32_e32 vcc_lo, 0xc2b17218, v18
	v_div_scale_f32 v29, null, v21, v21, 1.0
	s_delay_alu instid0(VALU_DEP_4) | instskip(SKIP_2) | instid1(VALU_DEP_4)
	v_cndmask_b32_e32 v18, 0x7f800000, v24, vcc_lo
	v_sub_f32_e32 v24, v26, v28
	v_div_fixup_f32 v26, v27, v23, 1.0
	v_rcp_f32_e32 v34, v29
	v_fma_f32 v23, -v33, v32, v40
	s_waitcnt vmcnt(11)
	v_mul_f32_e32 v33, 0xbfb8aa3b, v15
	s_mov_b32 vcc_lo, s1
	v_cvt_i32_f32_e32 v28, v28
	v_div_fmas_f32 v23, v23, v35, v32
	s_delay_alu instid0(VALU_DEP_3)
	v_rndne_f32_e32 v36, v33
	v_fma_f32 v37, 0xbfb8aa3b, v15, -v33
	v_fmac_f32_e32 v30, 0xb2a5705f, v17
	v_fma_f32 v31, -v29, v34, 1.0
	v_div_fixup_f32 v27, v23, v22, 1.0
	v_sub_f32_e32 v23, v33, v36
	v_dual_fmac_f32 v37, 0xb2a5705f, v15 :: v_dual_add_f32 v18, 1.0, v18
	s_delay_alu instid0(VALU_DEP_4) | instskip(SKIP_2) | instid1(VALU_DEP_4)
	v_fmac_f32_e32 v34, v31, v34
	v_add_f32_e32 v24, v24, v30
	v_div_scale_f32 v30, s0, 1.0, v21, 1.0
	v_add_f32_e32 v23, v23, v37
	v_div_scale_f32 v31, null, v18, v18, 1.0
	s_delay_alu instid0(VALU_DEP_4) | instskip(SKIP_1) | instid1(VALU_DEP_2)
	v_exp_f32_e32 v24, v24
	v_cmp_nlt_f32_e32 vcc_lo, 0x42ce8ed0, v17
	v_rcp_f32_e32 v35, v31
	s_waitcnt_depctr 0xfff
	v_ldexp_f32 v22, v24, v28
	v_fma_f32 v24, -v31, v35, 1.0
	v_mul_f32_e32 v32, v30, v34
	s_delay_alu instid0(VALU_DEP_3) | instskip(SKIP_1) | instid1(VALU_DEP_4)
	v_cndmask_b32_e32 v22, 0, v22, vcc_lo
	v_cmp_ngt_f32_e32 vcc_lo, 0xc2b17218, v17
	v_fmac_f32_e32 v35, v24, v35
	s_delay_alu instid0(VALU_DEP_4) | instskip(SKIP_3) | instid1(VALU_DEP_3)
	v_fma_f32 v38, -v29, v32, v30
	v_div_scale_f32 v24, s1, 1.0, v18, 1.0
	v_cndmask_b32_e32 v17, 0x7f800000, v22, vcc_lo
	v_exp_f32_e32 v22, v23
	v_fmac_f32_e32 v32, v38, v34
	v_cmp_nlt_f32_e32 vcc_lo, 0x42ce8ed0, v15
	s_delay_alu instid0(VALU_DEP_3) | instskip(NEXT) | instid1(VALU_DEP_3)
	v_add_f32_e32 v17, 1.0, v17
	v_fma_f32 v28, -v29, v32, v30
	v_cvt_i32_f32_e32 v29, v36
	s_delay_alu instid0(VALU_DEP_3)
	v_div_scale_f32 v36, null, v17, v17, 1.0
	s_delay_alu instid0(TRANS32_DEP_1) | instid1(VALU_DEP_2)
	v_ldexp_f32 v22, v22, v29
	v_mul_f32_e32 v29, v24, v35
	s_delay_alu instid0(VALU_DEP_3) | instskip(NEXT) | instid1(VALU_DEP_2)
	v_rcp_f32_e32 v37, v36
	v_cndmask_b32_e32 v22, 0, v22, vcc_lo
	s_mov_b32 vcc_lo, s0
	v_div_fmas_f32 v28, v28, v34, v32
	v_fma_f32 v32, -v31, v29, v24
	v_cmp_ngt_f32_e32 vcc_lo, 0xc2b17218, v15
	s_delay_alu instid0(VALU_DEP_3)
	v_div_fixup_f32 v28, v28, v21, 1.0
	v_cndmask_b32_e32 v15, 0x7f800000, v22, vcc_lo
	s_waitcnt vmcnt(10)
	v_cmp_nlt_f32_e32 vcc_lo, 0x42ce8ed0, v14
	v_fmac_f32_e32 v29, v32, v35
	v_fma_f32 v32, -v36, v37, 1.0
	s_delay_alu instid0(VALU_DEP_1) | instskip(SKIP_2) | instid1(VALU_DEP_2)
	v_fmac_f32_e32 v37, v32, v37
	v_mul_f32_e32 v23, 0xbfb8aa3b, v14
	v_div_scale_f32 v32, s0, 1.0, v17, 1.0
	v_rndne_f32_e32 v30, v23
	v_fma_f32 v33, 0xbfb8aa3b, v14, -v23
	s_delay_alu instid0(VALU_DEP_2) | instskip(NEXT) | instid1(VALU_DEP_2)
	v_sub_f32_e32 v23, v23, v30
	v_fmac_f32_e32 v33, 0xb2a5705f, v14
	v_cvt_i32_f32_e32 v30, v30
	s_delay_alu instid0(VALU_DEP_2) | instskip(NEXT) | instid1(VALU_DEP_1)
	v_add_f32_e32 v23, v23, v33
	v_exp_f32_e32 v22, v23
	s_waitcnt vmcnt(9)
	v_mul_f32_e32 v23, 0xbfb8aa3b, v13
	s_delay_alu instid0(VALU_DEP_1) | instskip(SKIP_4) | instid1(VALU_DEP_2)
	v_rndne_f32_e32 v33, v23
	v_fma_f32 v34, 0xbfb8aa3b, v13, -v23
	s_waitcnt_depctr 0xfff
	v_ldexp_f32 v22, v22, v30
	v_fmac_f32_e32 v34, 0xb2a5705f, v13
	v_cndmask_b32_e32 v22, 0, v22, vcc_lo
	v_cmp_ngt_f32_e32 vcc_lo, 0xc2b17218, v14
	s_delay_alu instid0(VALU_DEP_2) | instskip(SKIP_1) | instid1(VALU_DEP_2)
	v_dual_add_f32 v15, 1.0, v15 :: v_dual_cndmask_b32 v14, 0x7f800000, v22
	v_sub_f32_e32 v23, v23, v33
	v_div_scale_f32 v38, null, v15, v15, 1.0
	v_cmp_nlt_f32_e32 vcc_lo, 0x42ce8ed0, v13
	s_delay_alu instid0(VALU_DEP_4) | instskip(NEXT) | instid1(VALU_DEP_4)
	v_add_f32_e32 v14, 1.0, v14
	v_add_f32_e32 v23, v23, v34
	s_delay_alu instid0(VALU_DEP_4) | instskip(SKIP_1) | instid1(VALU_DEP_3)
	v_rcp_f32_e32 v30, v38
	v_mul_f32_e32 v22, v32, v37
	v_div_scale_f32 v34, null, v14, v14, 1.0
	s_delay_alu instid0(VALU_DEP_3) | instskip(SKIP_2) | instid1(VALU_DEP_3)
	v_exp_f32_e32 v21, v23
	v_fma_f32 v23, -v31, v29, v24
	v_cvt_i32_f32_e32 v31, v33
	v_rcp_f32_e32 v39, v34
	v_fma_f32 v33, -v36, v22, v32
	s_delay_alu instid0(TRANS32_DEP_3) | instskip(NEXT) | instid1(VALU_DEP_2)
	v_fma_f32 v24, -v38, v30, 1.0
	v_fmac_f32_e32 v22, v33, v37
	s_delay_alu instid0(TRANS32_DEP_2) | instskip(NEXT) | instid1(VALU_DEP_3)
	v_ldexp_f32 v21, v21, v31
	v_fmac_f32_e32 v30, v24, v30
	v_div_scale_f32 v24, s2, 1.0, v15, 1.0
	s_delay_alu instid0(VALU_DEP_3) | instskip(SKIP_4) | instid1(VALU_DEP_3)
	v_cndmask_b32_e32 v21, 0, v21, vcc_lo
	s_mov_b32 vcc_lo, s1
	v_div_fmas_f32 v23, v23, v35, v29
	v_cmp_ngt_f32_e32 vcc_lo, 0xc2b17218, v13
	v_div_scale_f32 v35, s1, 1.0, v14, 1.0
	v_div_fixup_f32 v29, v23, v18, 1.0
	v_cndmask_b32_e32 v13, 0x7f800000, v21, vcc_lo
	v_fma_f32 v21, -v34, v39, 1.0
	v_fma_f32 v23, -v36, v22, v32
	s_waitcnt vmcnt(8)
	v_mul_f32_e32 v32, 0xbfb8aa3b, v12
	s_mov_b32 vcc_lo, s0
	v_fmac_f32_e32 v39, v21, v39
	v_mul_f32_e32 v31, v24, v30
	s_delay_alu instid0(VALU_DEP_3) | instskip(SKIP_4) | instid1(VALU_DEP_3)
	v_rndne_f32_e32 v21, v32
	v_fma_f32 v33, 0xbfb8aa3b, v12, -v32
	v_div_fmas_f32 v22, v23, v37, v22
	s_mov_b32 vcc_lo, s2
	v_fma_f32 v18, -v38, v31, v24
	v_dual_sub_f32 v32, v32, v21 :: v_dual_fmac_f32 v33, 0xb2a5705f, v12
	s_delay_alu instid0(VALU_DEP_1) | instskip(NEXT) | instid1(VALU_DEP_1)
	v_dual_fmac_f32 v31, v18, v30 :: v_dual_add_f32 v32, v32, v33
	v_fma_f32 v23, -v38, v31, v24
	v_mul_f32_e32 v24, v35, v39
	s_delay_alu instid0(VALU_DEP_3) | instskip(NEXT) | instid1(VALU_DEP_2)
	v_exp_f32_e32 v32, v32
	v_div_fmas_f32 v23, v23, v30, v31
	v_div_fixup_f32 v30, v22, v17, 1.0
	s_waitcnt vmcnt(7)
	v_mul_f32_e32 v17, 0xbfb8aa3b, v11
	v_fma_f32 v33, -v34, v24, v35
	v_cmp_nlt_f32_e32 vcc_lo, 0x42ce8ed0, v12
	v_div_fixup_f32 v31, v23, v15, 1.0
	v_cvt_i32_f32_e32 v15, v21
	s_delay_alu instid0(VALU_DEP_4) | instskip(NEXT) | instid1(VALU_DEP_2)
	v_fmac_f32_e32 v24, v33, v39
	v_ldexp_f32 v15, v32, v15
	v_fma_f32 v32, 0xbfb8aa3b, v11, -v17
	v_add_f32_e32 v13, 1.0, v13
	s_delay_alu instid0(VALU_DEP_4) | instskip(NEXT) | instid1(VALU_DEP_4)
	v_fma_f32 v22, -v34, v24, v35
	v_cndmask_b32_e32 v15, 0, v15, vcc_lo
	s_delay_alu instid0(VALU_DEP_4) | instskip(NEXT) | instid1(VALU_DEP_4)
	v_fmac_f32_e32 v32, 0xb2a5705f, v11
	v_div_scale_f32 v18, null, v13, v13, 1.0
	s_mov_b32 vcc_lo, s1
	v_div_scale_f32 v21, s0, 1.0, v13, 1.0
	s_delay_alu instid0(VALU_DEP_2)
	v_rcp_f32_e32 v36, v18
	v_div_fmas_f32 v22, v22, v39, v24
	v_cmp_ngt_f32_e32 vcc_lo, 0xc2b17218, v12
	v_cndmask_b32_e32 v12, 0x7f800000, v15, vcc_lo
	v_cmp_nlt_f32_e32 vcc_lo, 0x42ce8ed0, v11
	s_waitcnt_depctr 0xfff
	v_fma_f32 v37, -v18, v36, 1.0
	v_add_f32_e32 v12, 1.0, v12
	s_delay_alu instid0(VALU_DEP_2) | instskip(NEXT) | instid1(VALU_DEP_2)
	v_fmac_f32_e32 v36, v37, v36
	v_div_scale_f32 v34, null, v12, v12, 1.0
	s_delay_alu instid0(VALU_DEP_2) | instskip(NEXT) | instid1(VALU_DEP_2)
	v_mul_f32_e32 v33, v21, v36
	v_rcp_f32_e32 v38, v34
	s_delay_alu instid0(VALU_DEP_1) | instskip(SKIP_1) | instid1(VALU_DEP_1)
	v_fma_f32 v24, -v18, v33, v21
	s_waitcnt vmcnt(5)
	v_dual_fmac_f32 v33, v24, v36 :: v_dual_mul_f32 v24, 0xbfb8aa3b, v9
	v_rndne_f32_e32 v23, v17
	s_delay_alu instid0(VALU_DEP_2) | instskip(NEXT) | instid1(VALU_DEP_3)
	v_fma_f32 v18, -v18, v33, v21
	v_rndne_f32_e32 v35, v24
	s_delay_alu instid0(VALU_DEP_3) | instskip(SKIP_2) | instid1(VALU_DEP_3)
	v_sub_f32_e32 v17, v17, v23
	v_cvt_i32_f32_e32 v23, v23
	v_fma_f32 v37, 0xbfb8aa3b, v9, -v24
	v_add_f32_e32 v15, v17, v32
	v_mul_f32_e32 v17, 0xbfb8aa3b, v10
	v_div_fixup_f32 v32, v22, v14, 1.0
	s_delay_alu instid0(VALU_DEP_4) | instskip(NEXT) | instid1(VALU_DEP_4)
	v_fmac_f32_e32 v37, 0xb2a5705f, v9
	v_exp_f32_e32 v14, v15
	s_delay_alu instid0(VALU_DEP_3) | instskip(SKIP_1) | instid1(VALU_DEP_1)
	v_rndne_f32_e32 v15, v17
	v_fma_f32 v22, 0xbfb8aa3b, v10, -v17
	v_dual_sub_f32 v17, v17, v15 :: v_dual_fmac_f32 v22, 0xb2a5705f, v10
	s_waitcnt_depctr 0xfff
	v_ldexp_f32 v14, v14, v23
	v_dual_add_f32 v17, v17, v22 :: v_dual_sub_f32 v22, v24, v35
	s_delay_alu instid0(VALU_DEP_2) | instskip(SKIP_1) | instid1(VALU_DEP_3)
	v_cndmask_b32_e32 v14, 0, v14, vcc_lo
	v_cmp_ngt_f32_e32 vcc_lo, 0xc2b17218, v11
	v_exp_f32_e32 v17, v17
	s_delay_alu instid0(VALU_DEP_3)
	v_add_f32_e32 v21, v22, v37
	v_fma_f32 v22, -v34, v38, 1.0
	v_cndmask_b32_e32 v11, 0x7f800000, v14, vcc_lo
	v_cvt_i32_f32_e32 v14, v15
	s_mov_b32 vcc_lo, s0
	v_exp_f32_e32 v15, v21
	v_div_fmas_f32 v18, v18, v36, v33
	v_cmp_nlt_f32_e32 vcc_lo, 0x42ce8ed0, v10
	s_delay_alu instid0(TRANS32_DEP_2)
	v_ldexp_f32 v14, v17, v14
	v_cvt_i32_f32_e32 v17, v35
	v_cmp_ngt_f32_e64 s0, 0xc2b17218, v9
	v_fmac_f32_e32 v38, v22, v38
	v_div_fixup_f32 v33, v18, v13, 1.0
	v_cndmask_b32_e32 v14, 0, v14, vcc_lo
	v_cmp_ngt_f32_e32 vcc_lo, 0xc2b17218, v10
	v_ldexp_f32 v15, v15, v17
	s_waitcnt vmcnt(4)
	v_mul_f32_e32 v35, 0xbfb8aa3b, v8
	v_cndmask_b32_e32 v10, 0x7f800000, v14, vcc_lo
	v_cmp_nlt_f32_e32 vcc_lo, 0x42ce8ed0, v9
	s_delay_alu instid0(VALU_DEP_3) | instskip(SKIP_1) | instid1(VALU_DEP_4)
	v_rndne_f32_e32 v37, v35
	v_fma_f32 v39, 0xbfb8aa3b, v8, -v35
	v_add_f32_e32 v10, 1.0, v10
	v_cndmask_b32_e32 v14, 0, v15, vcc_lo
	v_div_scale_f32 v15, vcc_lo, 1.0, v12, 1.0
	v_sub_f32_e32 v35, v35, v37
	v_fmac_f32_e32 v39, 0xb2a5705f, v8
	s_delay_alu instid0(VALU_DEP_4) | instskip(NEXT) | instid1(VALU_DEP_4)
	v_cndmask_b32_e64 v9, 0x7f800000, v14, s0
	v_mul_f32_e32 v14, v15, v38
	v_div_scale_f32 v22, null, v10, v10, 1.0
	s_delay_alu instid0(VALU_DEP_4) | instskip(NEXT) | instid1(VALU_DEP_4)
	v_add_f32_e32 v35, v35, v39
	v_add_f32_e32 v9, 1.0, v9
	s_delay_alu instid0(VALU_DEP_4) | instskip(NEXT) | instid1(VALU_DEP_4)
	v_fma_f32 v13, -v34, v14, v15
	v_rcp_f32_e32 v23, v22
	s_delay_alu instid0(VALU_DEP_3) | instskip(NEXT) | instid1(VALU_DEP_2)
	v_exp_f32_e32 v35, v35
	v_div_scale_f32 v24, null, v9, v9, 1.0
	s_delay_alu instid0(VALU_DEP_2) | instskip(NEXT) | instid1(VALU_DEP_2)
	v_fmac_f32_e32 v14, v13, v38
	v_rcp_f32_e32 v36, v24
	s_delay_alu instid0(VALU_DEP_1) | instskip(NEXT) | instid1(TRANS32_DEP_3)
	v_fma_f32 v15, -v34, v14, v15
	v_fma_f32 v40, -v22, v23, 1.0
	s_delay_alu instid0(VALU_DEP_2)
	v_div_fmas_f32 v14, v15, v38, v14
	v_cvt_i32_f32_e32 v15, v37
	v_cmp_nlt_f32_e32 vcc_lo, 0x42ce8ed0, v8
	s_waitcnt_depctr 0xfff
	v_fma_f32 v41, -v24, v36, 1.0
	v_fmac_f32_e32 v23, v40, v23
	v_div_scale_f32 v40, s1, 1.0, v10, 1.0
	s_delay_alu instid0(VALU_DEP_3) | instskip(SKIP_2) | instid1(VALU_DEP_2)
	v_fmac_f32_e32 v36, v41, v36
	v_div_scale_f32 v41, s2, 1.0, v9, 1.0
	v_add_f32_e32 v11, 1.0, v11
	v_dual_mul_f32 v39, v40, v23 :: v_dual_mul_f32 v38, v41, v36
	s_delay_alu instid0(VALU_DEP_2) | instskip(NEXT) | instid1(VALU_DEP_2)
	v_div_scale_f32 v17, null, v11, v11, 1.0
	v_fma_f32 v37, -v22, v39, v40
	s_delay_alu instid0(VALU_DEP_2) | instskip(NEXT) | instid1(VALU_DEP_1)
	v_rcp_f32_e32 v21, v17
	v_fmac_f32_e32 v39, v37, v23
	s_waitcnt_depctr 0xfff
	v_fma_f32 v18, -v17, v21, 1.0
	s_delay_alu instid0(VALU_DEP_1) | instskip(SKIP_1) | instid1(VALU_DEP_1)
	v_fmac_f32_e32 v21, v18, v21
	v_div_scale_f32 v18, s0, 1.0, v11, 1.0
	v_mul_f32_e32 v13, v18, v21
	s_delay_alu instid0(VALU_DEP_1) | instskip(NEXT) | instid1(VALU_DEP_1)
	v_fma_f32 v34, -v17, v13, v18
	v_fmac_f32_e32 v13, v34, v21
	v_div_fixup_f32 v34, v14, v12, 1.0
	v_ldexp_f32 v12, v35, v15
	v_fma_f32 v15, -v24, v38, v41
	s_delay_alu instid0(VALU_DEP_4) | instskip(NEXT) | instid1(VALU_DEP_3)
	v_fma_f32 v14, -v17, v13, v18
	v_cndmask_b32_e32 v12, 0, v12, vcc_lo
	s_mov_b32 vcc_lo, s0
	s_delay_alu instid0(VALU_DEP_3) | instskip(NEXT) | instid1(VALU_DEP_3)
	v_fmac_f32_e32 v38, v15, v36
	v_div_fmas_f32 v13, v14, v21, v13
	v_cmp_ngt_f32_e32 vcc_lo, 0xc2b17218, v8
	v_fma_f32 v14, -v22, v39, v40
	s_delay_alu instid0(VALU_DEP_4) | instskip(NEXT) | instid1(VALU_DEP_4)
	v_fma_f32 v18, -v24, v38, v41
	v_div_fixup_f32 v35, v13, v11, 1.0
	v_cndmask_b32_e32 v8, 0x7f800000, v12, vcc_lo
	s_waitcnt vmcnt(3)
	v_mul_f32_e32 v12, 0xbfb8aa3b, v7
	s_mov_b32 vcc_lo, s1
	v_div_fmas_f32 v14, v14, v23, v39
	v_add_f32_e32 v8, 1.0, v8
	s_delay_alu instid0(VALU_DEP_3) | instskip(SKIP_2) | instid1(VALU_DEP_3)
	v_rndne_f32_e32 v15, v12
	v_fma_f32 v17, 0xbfb8aa3b, v7, -v12
	s_mov_b32 vcc_lo, s2
	v_div_scale_f32 v21, null, v8, v8, 1.0
	s_delay_alu instid0(VALU_DEP_3) | instskip(SKIP_2) | instid1(VALU_DEP_4)
	v_sub_f32_e32 v12, v12, v15
	v_div_fmas_f32 v18, v18, v36, v38
	v_div_fixup_f32 v36, v14, v10, 1.0
	v_rcp_f32_e32 v22, v21
	v_cvt_i32_f32_e32 v14, v15
	v_cmp_nlt_f32_e32 vcc_lo, 0x42ce8ed0, v7
	v_div_fixup_f32 v37, v18, v9, 1.0
	s_waitcnt_depctr 0xfff
	v_fma_f32 v13, -v21, v22, 1.0
	s_delay_alu instid0(VALU_DEP_1) | instskip(SKIP_1) | instid1(VALU_DEP_1)
	v_dual_fmac_f32 v17, 0xb2a5705f, v7 :: v_dual_fmac_f32 v22, v13, v22
	s_waitcnt vmcnt(2)
	v_dual_add_f32 v12, v12, v17 :: v_dual_mul_f32 v17, 0xbfb8aa3b, v6
	s_delay_alu instid0(VALU_DEP_1) | instskip(NEXT) | instid1(VALU_DEP_1)
	v_exp_f32_e32 v9, v12
	v_rndne_f32_e32 v10, v17
	v_fma_f32 v11, 0xbfb8aa3b, v6, -v17
	s_waitcnt vmcnt(1)
	s_delay_alu instid0(VALU_DEP_2) | instskip(NEXT) | instid1(VALU_DEP_2)
	v_dual_mul_f32 v12, 0xbfb8aa3b, v5 :: v_dual_sub_f32 v15, v17, v10
	v_fmac_f32_e32 v11, 0xb2a5705f, v6
	s_delay_alu instid0(VALU_DEP_2) | instskip(SKIP_1) | instid1(TRANS32_DEP_1)
	v_rndne_f32_e32 v17, v12
	v_fma_f32 v18, 0xbfb8aa3b, v5, -v12
	v_ldexp_f32 v9, v9, v14
	v_cvt_i32_f32_e32 v10, v10
	s_delay_alu instid0(VALU_DEP_4) | instskip(NEXT) | instid1(VALU_DEP_4)
	v_dual_add_f32 v11, v15, v11 :: v_dual_sub_f32 v12, v12, v17
	v_fmac_f32_e32 v18, 0xb2a5705f, v5
	s_delay_alu instid0(VALU_DEP_4) | instskip(SKIP_1) | instid1(VALU_DEP_4)
	v_cndmask_b32_e32 v9, 0, v9, vcc_lo
	v_cmp_ngt_f32_e32 vcc_lo, 0xc2b17218, v7
	v_exp_f32_e32 v11, v11
	v_cvt_i32_f32_e32 v13, v17
	s_delay_alu instid0(VALU_DEP_3) | instskip(SKIP_1) | instid1(VALU_DEP_2)
	v_dual_add_f32 v12, v12, v18 :: v_dual_cndmask_b32 v7, 0x7f800000, v9
	v_cmp_nlt_f32_e32 vcc_lo, 0x42ce8ed0, v6
	v_exp_f32_e32 v9, v12
	s_waitcnt_depctr 0xfff
	v_ldexp_f32 v10, v11, v10
	s_waitcnt vmcnt(0)
	s_delay_alu instid0(VALU_DEP_1) | instskip(SKIP_2) | instid1(VALU_DEP_3)
	v_dual_mul_f32 v23, 0xbfb8aa3b, v4 :: v_dual_cndmask_b32 v10, 0, v10
	v_cmp_nlt_f32_e32 vcc_lo, 0x42ce8ed0, v5
	v_ldexp_f32 v9, v9, v13
	v_rndne_f32_e32 v14, v23
	v_fma_f32 v15, 0xbfb8aa3b, v4, -v23
	s_delay_alu instid0(VALU_DEP_3) | instskip(SKIP_1) | instid1(VALU_DEP_4)
	v_cndmask_b32_e32 v9, 0, v9, vcc_lo
	v_cmp_ngt_f32_e32 vcc_lo, 0xc2b17218, v6
	v_sub_f32_e32 v18, v23, v14
	v_cvt_i32_f32_e32 v13, v14
	v_cndmask_b32_e32 v6, 0x7f800000, v10, vcc_lo
	v_cmp_ngt_f32_e32 vcc_lo, 0xc2b17218, v5
	s_delay_alu instid0(VALU_DEP_2) | instskip(SKIP_2) | instid1(VALU_DEP_1)
	v_dual_add_f32 v6, 1.0, v6 :: v_dual_cndmask_b32 v5, 0x7f800000, v9
	v_cmp_nlt_f32_e32 vcc_lo, 0x42ce8ed0, v4
	v_fmac_f32_e32 v15, 0xb2a5705f, v4
	v_add_f32_e32 v12, v18, v15
	s_delay_alu instid0(VALU_DEP_1) | instskip(SKIP_3) | instid1(VALU_DEP_2)
	v_exp_f32_e32 v11, v12
	s_waitcnt_depctr 0xfff
	v_ldexp_f32 v10, v11, v13
	v_div_scale_f32 v11, null, v6, v6, 1.0
	v_cndmask_b32_e32 v10, 0, v10, vcc_lo
	v_cmp_ngt_f32_e32 vcc_lo, 0xc2b17218, v4
	s_delay_alu instid0(VALU_DEP_3) | instskip(NEXT) | instid1(VALU_DEP_2)
	v_rcp_f32_e32 v14, v11
	v_cndmask_b32_e32 v4, 0x7f800000, v10, vcc_lo
	v_div_scale_f32 v13, vcc_lo, 1.0, v8, 1.0
	s_delay_alu instid0(VALU_DEP_1) | instskip(SKIP_4) | instid1(VALU_DEP_3)
	v_mul_f32_e32 v18, v13, v22
	s_waitcnt_depctr 0xfff
	v_fma_f32 v24, -v11, v14, 1.0
	v_add_f32_e32 v7, 1.0, v7
	v_fma_f32 v39, -v21, v18, v13
	v_fmac_f32_e32 v14, v24, v14
	s_delay_alu instid0(VALU_DEP_3) | instskip(SKIP_1) | instid1(VALU_DEP_4)
	v_div_scale_f32 v12, null, v7, v7, 1.0
	v_div_scale_f32 v24, s1, 1.0, v6, 1.0
	v_fmac_f32_e32 v18, v39, v22
	s_delay_alu instid0(VALU_DEP_3) | instskip(NEXT) | instid1(VALU_DEP_1)
	v_rcp_f32_e32 v9, v12
	v_fma_f32 v13, -v21, v18, v13
	s_delay_alu instid0(VALU_DEP_1) | instskip(SKIP_2) | instid1(VALU_DEP_1)
	v_div_fmas_f32 v13, v13, v22, v18
	s_waitcnt_depctr 0xfff
	v_fma_f32 v15, -v12, v9, 1.0
	v_dual_fmac_f32 v9, v15, v9 :: v_dual_add_f32 v4, 1.0, v4
	v_div_scale_f32 v15, s0, 1.0, v7, 1.0
	s_delay_alu instid0(VALU_DEP_1) | instskip(NEXT) | instid1(VALU_DEP_2)
	s_mov_b32 vcc_lo, s0
	v_div_scale_f32 v23, null, v4, v4, 1.0
	s_delay_alu instid0(VALU_DEP_2) | instskip(NEXT) | instid1(VALU_DEP_2)
	v_mul_f32_e32 v41, v15, v9
	v_rcp_f32_e32 v38, v23
	s_delay_alu instid0(VALU_DEP_1) | instskip(NEXT) | instid1(VALU_DEP_1)
	v_fma_f32 v39, -v12, v41, v15
	v_fmac_f32_e32 v41, v39, v9
	s_waitcnt_depctr 0xfff
	v_fma_f32 v42, -v23, v38, 1.0
	v_fma_f32 v12, -v12, v41, v15
	s_delay_alu instid0(VALU_DEP_2) | instskip(SKIP_1) | instid1(VALU_DEP_3)
	v_dual_fmac_f32 v38, v42, v38 :: v_dual_add_f32 v5, 1.0, v5
	v_div_scale_f32 v42, s3, 1.0, v4, 1.0
	v_div_fmas_f32 v9, v12, v9, v41
	s_mov_b32 vcc_lo, s1
	s_delay_alu instid0(VALU_DEP_3) | instskip(NEXT) | instid1(VALU_DEP_3)
	v_div_scale_f32 v10, null, v5, v5, 1.0
	v_mul_f32_e32 v45, v42, v38
	s_delay_alu instid0(VALU_DEP_2) | instskip(NEXT) | instid1(VALU_DEP_1)
	v_rcp_f32_e32 v17, v10
	v_fma_f32 v15, -v23, v45, v42
	s_delay_alu instid0(VALU_DEP_1) | instskip(SKIP_3) | instid1(VALU_DEP_2)
	v_fmac_f32_e32 v45, v15, v38
	s_waitcnt_depctr 0xfff
	v_fma_f32 v40, -v10, v17, 1.0
	v_fma_f32 v12, -v23, v45, v42
	v_fmac_f32_e32 v17, v40, v17
	v_div_scale_f32 v40, s2, 1.0, v5, 1.0
	s_delay_alu instid0(VALU_DEP_1) | instskip(NEXT) | instid1(VALU_DEP_1)
	v_mul_f32_e32 v44, v40, v17
	v_fma_f32 v39, -v10, v44, v40
	s_delay_alu instid0(VALU_DEP_1) | instskip(NEXT) | instid1(VALU_DEP_1)
	v_dual_mul_f32 v43, v24, v14 :: v_dual_fmac_f32 v44, v39, v17
	v_fma_f32 v21, -v11, v43, v24
	v_div_fixup_f32 v39, v9, v7, 1.0
	s_delay_alu instid0(VALU_DEP_3) | instskip(NEXT) | instid1(VALU_DEP_3)
	v_fma_f32 v10, -v10, v44, v40
	v_fmac_f32_e32 v43, v21, v14
	s_delay_alu instid0(VALU_DEP_1) | instskip(NEXT) | instid1(VALU_DEP_1)
	v_fma_f32 v11, -v11, v43, v24
	v_div_fmas_f32 v11, v11, v14, v43
	s_mov_b32 vcc_lo, s2
	v_div_fmas_f32 v10, v10, v17, v44
	s_mov_b32 vcc_lo, s3
	s_delay_alu instid0(VALU_DEP_2) | instskip(SKIP_3) | instid1(VALU_DEP_3)
	v_div_fixup_f32 v40, v11, v6, 1.0
	v_div_fmas_f32 v12, v12, v38, v45
	v_div_fixup_f32 v38, v13, v8, 1.0
	v_div_fixup_f32 v41, v10, v5, 1.0
	;; [unrolled: 1-line block ×3, first 2 shown]
.LBB10_6:
	s_waitcnt vmcnt(0)
	s_delay_alu instid0(VALU_DEP_1)
	v_dual_mov_b32 v4, v42 :: v_dual_mov_b32 v5, v41
	v_dual_mov_b32 v6, v40 :: v_dual_mov_b32 v7, v39
	;; [unrolled: 1-line block ×9, first 2 shown]
.LBB10_7:
	s_clause 0x11
	global_load_b32 v25, v19, s[54:55]
	global_load_b32 v26, v19, s[54:55] offset:128
	global_load_b32 v27, v19, s[54:55] offset:256
	global_load_b32 v28, v19, s[54:55] offset:384
	global_load_b32 v29, v19, s[54:55] offset:512
	global_load_b32 v30, v19, s[54:55] offset:640
	global_load_b32 v31, v19, s[54:55] offset:768
	global_load_b32 v32, v19, s[54:55] offset:896
	global_load_b32 v33, v19, s[54:55] offset:1024
	global_load_b32 v34, v19, s[54:55] offset:1152
	global_load_b32 v35, v19, s[54:55] offset:1280
	global_load_b32 v36, v19, s[54:55] offset:1408
	global_load_b32 v37, v19, s[54:55] offset:1536
	global_load_b32 v42, v19, s[54:55] offset:1664
	global_load_b32 v43, v19, s[54:55] offset:1792
	global_load_b32 v44, v19, s[54:55] offset:1920
	global_load_b32 v45, v19, s[54:55] offset:2048
	global_load_b32 v46, v19, s[54:55] offset:2176
	s_waitcnt vmcnt(35)
	v_cmp_o_f32_e32 vcc_lo, v24, v24
	v_lshrrev_b16 v47, 8, v3
	s_mov_b32 s7, s4
	s_mov_b32 s5, s4
	v_dual_mov_b32 v3, v2 :: v_dual_cndmask_b32 v38, 0xff7fffff, v24
	s_waitcnt vmcnt(34)
	v_cmp_o_f32_e32 vcc_lo, v23, v23
	s_mov_b32 s6, s4
	v_readfirstlane_b32 s0, v47
	s_cmp_gt_i32 s57, 0
	v_cndmask_b32_e32 v39, 0xff7fffff, v23, vcc_lo
	s_waitcnt vmcnt(33)
	v_cmp_o_f32_e32 vcc_lo, v22, v22
	v_cndmask_b32_e32 v40, 0xff7fffff, v22, vcc_lo
	s_waitcnt vmcnt(32)
	v_cmp_o_f32_e32 vcc_lo, v21, v21
	v_cndmask_b32_e32 v41, 0xff7fffff, v21, vcc_lo
	v_dual_mov_b32 v24, s7 :: v_dual_mov_b32 v23, s6
	s_waitcnt vmcnt(31)
	v_cmp_o_f32_e32 vcc_lo, v18, v18
	v_dual_mov_b32 v22, s5 :: v_dual_mov_b32 v21, s4
	s_clause 0x3
	scratch_store_b128 off, v[21:24], off offset:80
	scratch_store_b128 off, v[21:24], off offset:96
	;; [unrolled: 1-line block ×4, first 2 shown]
	s_waitcnt vmcnt(17)
	v_dual_add_f32 v21, v38, v25 :: v_dual_cndmask_b32 v18, 0xff7fffff, v18
	s_waitcnt vmcnt(15)
	v_add_f32_e32 v23, v40, v27
	v_cmp_o_f32_e32 vcc_lo, v17, v17
	s_waitcnt vmcnt(14)
	v_add_f32_e32 v24, v41, v28
	s_waitcnt vmcnt(13)
	v_dual_add_f32 v22, v39, v26 :: v_dual_add_f32 v25, v18, v29
	v_cndmask_b32_e32 v17, 0xff7fffff, v17, vcc_lo
	v_cmp_o_f32_e32 vcc_lo, v15, v15
	v_cndmask_b32_e32 v15, 0xff7fffff, v15, vcc_lo
	v_cmp_o_f32_e32 vcc_lo, v14, v14
	;; [unrolled: 2-line block ×3, first 2 shown]
	s_waitcnt vmcnt(10)
	s_delay_alu instid0(VALU_DEP_2)
	v_dual_add_f32 v28, v14, v32 :: v_dual_cndmask_b32 v13, 0xff7fffff, v13
	v_cmp_o_f32_e32 vcc_lo, v12, v12
	v_dual_add_f32 v26, v17, v30 :: v_dual_add_f32 v27, v15, v31
	v_cndmask_b32_e32 v12, 0xff7fffff, v12, vcc_lo
	v_cmp_o_f32_e32 vcc_lo, v11, v11
	s_waitcnt vmcnt(8)
	s_delay_alu instid0(VALU_DEP_2) | instskip(SKIP_4) | instid1(VALU_DEP_2)
	v_dual_add_f32 v30, v12, v34 :: v_dual_cndmask_b32 v11, 0xff7fffff, v11
	v_cmp_o_f32_e32 vcc_lo, v10, v10
	v_dual_add_f32 v29, v13, v33 :: v_dual_cndmask_b32 v10, 0xff7fffff, v10
	v_cmp_o_f32_e32 vcc_lo, v9, v9
	s_waitcnt vmcnt(6)
	v_dual_add_f32 v32, v10, v36 :: v_dual_cndmask_b32 v9, 0xff7fffff, v9
	v_cmp_o_f32_e32 vcc_lo, v8, v8
	v_dual_add_f32 v31, v11, v35 :: v_dual_cndmask_b32 v8, 0xff7fffff, v8
	v_cmp_o_f32_e32 vcc_lo, v7, v7
	s_waitcnt vmcnt(4)
	s_delay_alu instid0(VALU_DEP_2) | instskip(SKIP_4) | instid1(VALU_DEP_2)
	v_dual_add_f32 v34, v8, v42 :: v_dual_cndmask_b32 v7, 0xff7fffff, v7
	v_cmp_o_f32_e32 vcc_lo, v6, v6
	v_dual_add_f32 v33, v9, v37 :: v_dual_cndmask_b32 v6, 0xff7fffff, v6
	v_cmp_o_f32_e32 vcc_lo, v5, v5
	s_waitcnt vmcnt(2)
	v_dual_add_f32 v36, v6, v44 :: v_dual_cndmask_b32 v5, 0xff7fffff, v5
	v_cmp_o_f32_e32 vcc_lo, v4, v4
	v_dual_add_f32 v35, v7, v43 :: v_dual_cndmask_b32 v4, 0xff7fffff, v4
	s_waitcnt vmcnt(0)
	s_delay_alu instid0(VALU_DEP_1)
	v_dual_add_f32 v42, v5, v45 :: v_dual_add_f32 v43, v4, v46
	s_clause 0x5
	scratch_store_b128 off, v[21:24], off
	scratch_store_b128 off, v[25:28], off offset:16
	scratch_store_b128 off, v[29:32], off offset:32
	scratch_store_b128 off, v[33:36], off offset:48
	scratch_store_b64 off, v[42:43], off offset:64
	scratch_store_b64 off, v[2:3], off offset:144
	s_cbranch_scc1 .LBB10_9
; %bb.8:
	s_bitcmp1_b32 s0, 0
	s_mov_b32 s1, 0
	s_mov_b32 s2, 0
	s_cselect_b32 s9, -1, 0
	s_branch .LBB10_10
.LBB10_9:
	s_mov_b32 s1, -1
                                        ; implicit-def: $sgpr2
                                        ; implicit-def: $sgpr9
.LBB10_10:
	v_add_nc_u32_e32 v37, 32, v20
	v_dual_mov_b32 v3, s2 :: v_dual_add_nc_u32 v36, 64, v20
	v_add_nc_u32_e32 v35, 0x60, v20
	v_add_nc_u32_e32 v34, 0x80, v20
	;; [unrolled: 1-line block ×15, first 2 shown]
	v_mbcnt_lo_u32_b32 v2, -1, 0
	s_and_not1_b32 vcc_lo, exec_lo, s1
	s_cbranch_vccnz .LBB10_39
; %bb.11:
	s_delay_alu instid0(VALU_DEP_1) | instskip(SKIP_3) | instid1(VALU_DEP_4)
	v_xor_b32_e32 v3, 16, v2
	v_add_co_u32 v0, vcc_lo, s52, v0
	v_add_co_ci_u32_e32 v1, vcc_lo, s53, v1, vcc_lo
	v_xor_b32_e32 v42, 8, v2
	v_cmp_gt_i32_e32 vcc_lo, 32, v3
	v_xor_b32_e32 v43, 4, v2
	v_xor_b32_e32 v44, 2, v2
	s_bitcmp1_b32 s0, 0
	s_mov_b32 s10, 0
	v_cndmask_b32_e32 v3, v2, v3, vcc_lo
	v_cmp_gt_i32_e32 vcc_lo, 32, v42
	s_cselect_b32 s9, -1, 0
	v_cndmask_b32_e32 v45, v2, v42, vcc_lo
	v_cmp_gt_i32_e32 vcc_lo, 32, v43
	v_xor_b32_e32 v42, 1, v2
	v_cndmask_b32_e32 v46, v2, v43, vcc_lo
	v_cmp_gt_i32_e32 vcc_lo, 32, v44
	v_cndmask_b32_e32 v47, v2, v44, vcc_lo
	s_delay_alu instid0(VALU_DEP_4) | instskip(NEXT) | instid1(VALU_DEP_4)
	v_cmp_gt_i32_e32 vcc_lo, 32, v42
	v_lshlrev_b32_e32 v44, 2, v46
	v_cndmask_b32_e32 v48, v2, v42, vcc_lo
	v_lshlrev_b32_e32 v42, 2, v3
	v_lshlrev_b32_e32 v43, 2, v45
	;; [unrolled: 1-line block ×3, first 2 shown]
	s_delay_alu instid0(VALU_DEP_4)
	v_dual_mov_b32 v3, 0 :: v_dual_lshlrev_b32 v46, 2, v48
	v_mov_b32_e32 v47, 0xff800000
	s_branch .LBB10_13
.LBB10_12:                              ;   in Loop: Header=BB10_13 Depth=1
	s_or_b32 exec_lo, exec_lo, s0
	v_add_co_u32 v0, vcc_lo, v0, 4
	v_add_co_ci_u32_e32 v1, vcc_lo, 0, v1, vcc_lo
	s_add_i32 s10, s10, 1
	s_delay_alu instid0(SALU_CYCLE_1)
	s_cmp_eq_u32 s57, s10
	s_cbranch_scc1 .LBB10_39
.LBB10_13:                              ; =>This Inner Loop Header: Depth=1
	s_waitcnt lgkmcnt(0)
	s_clause 0x4
	scratch_load_b128 v[48:51], off, off
	scratch_load_b128 v[52:55], off, off offset:16
	scratch_load_b128 v[56:59], off, off offset:32
	;; [unrolled: 1-line block ×3, first 2 shown]
	scratch_load_b64 v[64:65], off, off offset:64
	s_waitcnt vmcnt(4)
	v_cmp_gt_f32_e32 vcc_lo, v49, v48
	v_cndmask_b32_e32 v48, v48, v49, vcc_lo
	v_cndmask_b32_e32 v66, v38, v39, vcc_lo
	s_delay_alu instid0(VALU_DEP_2) | instskip(NEXT) | instid1(VALU_DEP_1)
	v_cmp_gt_f32_e64 s0, v50, v48
	v_cndmask_b32_e64 v48, v48, v50, s0
	s_delay_alu instid0(VALU_DEP_3) | instskip(SKIP_1) | instid1(VALU_DEP_3)
	v_cndmask_b32_e64 v49, v66, v40, s0
	v_cndmask_b32_e32 v50, v20, v37, vcc_lo
	v_cmp_gt_f32_e64 s1, v51, v48
	s_delay_alu instid0(VALU_DEP_2) | instskip(NEXT) | instid1(VALU_DEP_2)
	v_cndmask_b32_e64 v50, v50, v36, s0
	v_cndmask_b32_e64 v48, v48, v51, s1
	;; [unrolled: 1-line block ×3, first 2 shown]
	s_delay_alu instid0(VALU_DEP_3) | instskip(SKIP_1) | instid1(VALU_DEP_3)
	v_cndmask_b32_e64 v50, v50, v35, s1
	s_waitcnt vmcnt(3)
	v_cmp_gt_f32_e64 s2, v52, v48
	s_delay_alu instid0(VALU_DEP_1) | instskip(SKIP_2) | instid1(VALU_DEP_3)
	v_cndmask_b32_e64 v48, v48, v52, s2
	v_cndmask_b32_e64 v49, v49, v18, s2
	v_cndmask_b32_e64 v50, v50, v34, s2
	v_cmp_gt_f32_e64 s3, v53, v48
	s_delay_alu instid0(VALU_DEP_1) | instskip(NEXT) | instid1(VALU_DEP_4)
	v_cndmask_b32_e64 v48, v48, v53, s3
	v_cndmask_b32_e64 v49, v49, v17, s3
	s_delay_alu instid0(VALU_DEP_4) | instskip(NEXT) | instid1(VALU_DEP_3)
	v_cndmask_b32_e64 v50, v50, v33, s3
	v_cmp_gt_f32_e64 s4, v54, v48
	s_delay_alu instid0(VALU_DEP_1) | instskip(NEXT) | instid1(VALU_DEP_4)
	v_cndmask_b32_e64 v48, v48, v54, s4
	v_cndmask_b32_e64 v49, v49, v15, s4
	s_delay_alu instid0(VALU_DEP_4) | instskip(NEXT) | instid1(VALU_DEP_3)
	v_cndmask_b32_e64 v50, v50, v32, s4
	v_cmp_gt_f32_e64 s5, v55, v48
	s_delay_alu instid0(VALU_DEP_1) | instskip(NEXT) | instid1(VALU_DEP_4)
	v_cndmask_b32_e64 v48, v48, v55, s5
	v_cndmask_b32_e64 v49, v49, v14, s5
	s_delay_alu instid0(VALU_DEP_4) | instskip(SKIP_1) | instid1(VALU_DEP_3)
	v_cndmask_b32_e64 v50, v50, v31, s5
	s_waitcnt vmcnt(2)
	v_cmp_gt_f32_e64 s6, v56, v48
	s_delay_alu instid0(VALU_DEP_1) | instskip(SKIP_2) | instid1(VALU_DEP_3)
	v_cndmask_b32_e64 v48, v48, v56, s6
	v_cndmask_b32_e64 v49, v49, v13, s6
	;; [unrolled: 1-line block ×3, first 2 shown]
	v_cmp_gt_f32_e64 s7, v57, v48
	s_delay_alu instid0(VALU_DEP_1) | instskip(NEXT) | instid1(VALU_DEP_4)
	v_cndmask_b32_e64 v48, v48, v57, s7
	v_cndmask_b32_e64 v49, v49, v12, s7
	s_delay_alu instid0(VALU_DEP_4) | instskip(NEXT) | instid1(VALU_DEP_3)
	v_cndmask_b32_e64 v50, v50, v29, s7
	v_cmp_gt_f32_e64 s8, v58, v48
	s_delay_alu instid0(VALU_DEP_1) | instskip(NEXT) | instid1(VALU_DEP_4)
	v_cndmask_b32_e64 v48, v48, v58, s8
	v_cndmask_b32_e64 v49, v49, v11, s8
	s_delay_alu instid0(VALU_DEP_4) | instskip(NEXT) | instid1(VALU_DEP_3)
	v_cndmask_b32_e64 v50, v50, v28, s8
	v_cmp_gt_f32_e32 vcc_lo, v59, v48
	s_delay_alu instid0(VALU_DEP_3) | instskip(SKIP_1) | instid1(VALU_DEP_1)
	v_dual_cndmask_b32 v49, v49, v10 :: v_dual_cndmask_b32 v48, v48, v59
	s_waitcnt vmcnt(1)
	v_cmp_gt_f32_e64 s0, v60, v48
	s_delay_alu instid0(VALU_DEP_1) | instskip(NEXT) | instid1(VALU_DEP_3)
	v_cndmask_b32_e64 v48, v48, v60, s0
	v_cndmask_b32_e64 v49, v49, v9, s0
	s_delay_alu instid0(VALU_DEP_2) | instskip(NEXT) | instid1(VALU_DEP_1)
	v_cmp_gt_f32_e64 s1, v61, v48
	v_cndmask_b32_e64 v48, v48, v61, s1
	s_delay_alu instid0(VALU_DEP_3) | instskip(NEXT) | instid1(VALU_DEP_2)
	v_cndmask_b32_e64 v49, v49, v8, s1
	v_cmp_gt_f32_e64 s2, v62, v48
	s_delay_alu instid0(VALU_DEP_1) | instskip(NEXT) | instid1(VALU_DEP_3)
	v_cndmask_b32_e64 v48, v48, v62, s2
	v_cndmask_b32_e64 v49, v49, v7, s2
	s_delay_alu instid0(VALU_DEP_2) | instskip(NEXT) | instid1(VALU_DEP_1)
	v_cmp_gt_f32_e64 s3, v63, v48
	v_cndmask_b32_e64 v48, v48, v63, s3
	v_cndmask_b32_e32 v50, v50, v27, vcc_lo
	s_delay_alu instid0(VALU_DEP_4) | instskip(SKIP_1) | instid1(VALU_DEP_3)
	v_cndmask_b32_e64 v49, v49, v6, s3
	s_waitcnt vmcnt(0)
	v_cmp_gt_f32_e32 vcc_lo, v64, v48
	v_cndmask_b32_e32 v51, v48, v64, vcc_lo
	v_cndmask_b32_e64 v50, v50, v26, s0
	v_cndmask_b32_e32 v49, v49, v5, vcc_lo
	s_delay_alu instid0(VALU_DEP_3) | instskip(NEXT) | instid1(VALU_DEP_3)
	v_cmp_gt_f32_e64 s0, v65, v51
	v_cndmask_b32_e64 v50, v50, v25, s1
	s_delay_alu instid0(VALU_DEP_1) | instskip(NEXT) | instid1(VALU_DEP_3)
	v_cndmask_b32_e64 v48, v50, v24, s2
	v_cndmask_b32_e64 v50, v51, v65, s0
	s_mov_b32 s2, exec_lo
	s_delay_alu instid0(VALU_DEP_2)
	v_cndmask_b32_e64 v52, v48, v23, s3
	v_cndmask_b32_e64 v48, v49, v4, s0
	ds_bpermute_b32 v51, v42, v50
	v_cndmask_b32_e32 v49, v52, v22, vcc_lo
	ds_bpermute_b32 v53, v42, v48
	v_cndmask_b32_e64 v49, v49, v21, s0
	ds_bpermute_b32 v52, v42, v49
	s_waitcnt lgkmcnt(2)
	v_cmp_lt_f32_e64 s1, v50, v51
	v_cmpx_nlt_f32_e32 v50, v51
	s_cbranch_execz .LBB10_15
; %bb.14:                               ;   in Loop: Header=BB10_13 Depth=1
	v_cmp_eq_f32_e32 vcc_lo, v50, v51
	s_waitcnt lgkmcnt(0)
	v_cmp_lt_i32_e64 s0, v52, v49
	s_and_not1_b32 s1, s1, exec_lo
	s_delay_alu instid0(VALU_DEP_1) | instskip(NEXT) | instid1(SALU_CYCLE_1)
	s_and_b32 s0, vcc_lo, s0
	s_and_b32 s0, s0, exec_lo
	s_delay_alu instid0(SALU_CYCLE_1)
	s_or_b32 s1, s1, s0
.LBB10_15:                              ;   in Loop: Header=BB10_13 Depth=1
	s_or_b32 exec_lo, exec_lo, s2
	s_delay_alu instid0(VALU_DEP_2)
	s_and_saveexec_b32 s0, s1
	s_cbranch_execz .LBB10_17
; %bb.16:                               ;   in Loop: Header=BB10_13 Depth=1
	s_waitcnt lgkmcnt(0)
	v_dual_mov_b32 v50, v51 :: v_dual_mov_b32 v49, v52
	v_mov_b32_e32 v48, v53
.LBB10_17:                              ;   in Loop: Header=BB10_13 Depth=1
	s_or_b32 exec_lo, exec_lo, s0
	s_waitcnt lgkmcnt(1)
	ds_bpermute_b32 v53, v43, v50
	s_waitcnt lgkmcnt(1)
	ds_bpermute_b32 v52, v43, v48
	ds_bpermute_b32 v51, v43, v49
	s_mov_b32 s2, exec_lo
	s_waitcnt lgkmcnt(2)
	v_cmp_lt_f32_e64 s1, v50, v53
	v_cmpx_nlt_f32_e32 v50, v53
	s_cbranch_execz .LBB10_19
; %bb.18:                               ;   in Loop: Header=BB10_13 Depth=1
	v_cmp_eq_f32_e32 vcc_lo, v50, v53
	s_waitcnt lgkmcnt(0)
	v_cmp_lt_i32_e64 s0, v51, v49
	s_and_not1_b32 s1, s1, exec_lo
	s_delay_alu instid0(VALU_DEP_1) | instskip(NEXT) | instid1(SALU_CYCLE_1)
	s_and_b32 s0, vcc_lo, s0
	s_and_b32 s0, s0, exec_lo
	s_delay_alu instid0(SALU_CYCLE_1)
	s_or_b32 s1, s1, s0
.LBB10_19:                              ;   in Loop: Header=BB10_13 Depth=1
	s_or_b32 exec_lo, exec_lo, s2
	s_delay_alu instid0(VALU_DEP_2)
	s_and_saveexec_b32 s0, s1
	s_cbranch_execz .LBB10_21
; %bb.20:                               ;   in Loop: Header=BB10_13 Depth=1
	s_waitcnt lgkmcnt(0)
	v_dual_mov_b32 v50, v53 :: v_dual_mov_b32 v49, v51
	v_mov_b32_e32 v48, v52
.LBB10_21:                              ;   in Loop: Header=BB10_13 Depth=1
	s_or_b32 exec_lo, exec_lo, s0
	ds_bpermute_b32 v53, v44, v50
	s_waitcnt lgkmcnt(2)
	ds_bpermute_b32 v52, v44, v48
	s_waitcnt lgkmcnt(2)
	ds_bpermute_b32 v51, v44, v49
	s_mov_b32 s2, exec_lo
	s_waitcnt lgkmcnt(2)
	v_cmp_lt_f32_e64 s1, v50, v53
	v_cmpx_nlt_f32_e32 v50, v53
	s_cbranch_execz .LBB10_23
; %bb.22:                               ;   in Loop: Header=BB10_13 Depth=1
	v_cmp_eq_f32_e32 vcc_lo, v50, v53
	s_waitcnt lgkmcnt(0)
	v_cmp_lt_i32_e64 s0, v51, v49
	s_and_not1_b32 s1, s1, exec_lo
	s_delay_alu instid0(VALU_DEP_1) | instskip(NEXT) | instid1(SALU_CYCLE_1)
	s_and_b32 s0, vcc_lo, s0
	s_and_b32 s0, s0, exec_lo
	s_delay_alu instid0(SALU_CYCLE_1)
	s_or_b32 s1, s1, s0
.LBB10_23:                              ;   in Loop: Header=BB10_13 Depth=1
	s_or_b32 exec_lo, exec_lo, s2
	s_delay_alu instid0(VALU_DEP_2)
	s_and_saveexec_b32 s0, s1
	s_cbranch_execz .LBB10_25
; %bb.24:                               ;   in Loop: Header=BB10_13 Depth=1
	s_waitcnt lgkmcnt(0)
	v_dual_mov_b32 v50, v53 :: v_dual_mov_b32 v49, v51
	v_mov_b32_e32 v48, v52
.LBB10_25:                              ;   in Loop: Header=BB10_13 Depth=1
	s_or_b32 exec_lo, exec_lo, s0
	ds_bpermute_b32 v53, v45, v50
	s_waitcnt lgkmcnt(2)
	ds_bpermute_b32 v52, v45, v48
	s_waitcnt lgkmcnt(2)
	;; [unrolled: 31-line block ×3, first 2 shown]
	ds_bpermute_b32 v51, v46, v49
	s_mov_b32 s2, exec_lo
	s_waitcnt lgkmcnt(2)
	v_cmp_lt_f32_e64 s1, v50, v53
	v_cmpx_nlt_f32_e32 v50, v53
	s_cbranch_execz .LBB10_31
; %bb.30:                               ;   in Loop: Header=BB10_13 Depth=1
	v_cmp_eq_f32_e32 vcc_lo, v50, v53
	s_waitcnt lgkmcnt(0)
	v_cmp_lt_i32_e64 s0, v51, v49
	s_and_not1_b32 s1, s1, exec_lo
	s_delay_alu instid0(VALU_DEP_1) | instskip(NEXT) | instid1(SALU_CYCLE_1)
	s_and_b32 s0, vcc_lo, s0
	s_and_b32 s0, s0, exec_lo
	s_delay_alu instid0(SALU_CYCLE_1)
	s_or_b32 s1, s1, s0
.LBB10_31:                              ;   in Loop: Header=BB10_13 Depth=1
	s_or_b32 exec_lo, exec_lo, s2
	s_delay_alu instid0(VALU_DEP_2)
	s_and_saveexec_b32 s0, s1
	s_cbranch_execz .LBB10_33
; %bb.32:                               ;   in Loop: Header=BB10_13 Depth=1
	s_waitcnt lgkmcnt(0)
	v_dual_mov_b32 v48, v52 :: v_dual_mov_b32 v49, v51
.LBB10_33:                              ;   in Loop: Header=BB10_13 Depth=1
	s_or_b32 exec_lo, exec_lo, s0
	s_delay_alu instid0(VALU_DEP_1) | instskip(NEXT) | instid1(VALU_DEP_1)
	v_and_b32_e32 v50, 31, v49
	v_cmp_eq_u32_e32 vcc_lo, v50, v20
	s_and_saveexec_b32 s0, vcc_lo
	s_cbranch_execz .LBB10_35
; %bb.34:                               ;   in Loop: Header=BB10_13 Depth=1
	v_ashrrev_i32_e32 v50, 31, v49
	s_delay_alu instid0(VALU_DEP_1) | instskip(NEXT) | instid1(VALU_DEP_1)
	v_lshrrev_b32_e32 v50, 27, v50
	v_add_nc_u32_e32 v50, v49, v50
	s_delay_alu instid0(VALU_DEP_1) | instskip(NEXT) | instid1(VALU_DEP_1)
	v_ashrrev_i32_e32 v50, 5, v50
	v_lshl_add_u32 v50, v50, 2, 0
	scratch_store_b32 v50, v47, off
.LBB10_35:                              ;   in Loop: Header=BB10_13 Depth=1
	s_or_b32 exec_lo, exec_lo, s0
	s_and_b32 s0, s10, 31
	s_mov_b32 s1, exec_lo
	v_cmpx_eq_u32_e64 s0, v20
	s_cbranch_execz .LBB10_37
; %bb.36:                               ;   in Loop: Header=BB10_13 Depth=1
	s_lshr_b32 s0, s10, 3
	s_delay_alu instid0(SALU_CYCLE_1) | instskip(NEXT) | instid1(SALU_CYCLE_1)
	s_and_b32 s0, s0, 0x1ffffffc
	s_addk_i32 s0, 0x50
	scratch_store_b32 off, v48, s0
.LBB10_37:                              ;   in Loop: Header=BB10_13 Depth=1
	s_or_b32 exec_lo, exec_lo, s1
	s_and_saveexec_b32 s0, vcc_lo
	s_cbranch_execz .LBB10_12
; %bb.38:                               ;   in Loop: Header=BB10_13 Depth=1
	v_add_f32_e32 v48, v3, v48
	global_store_b32 v[0:1], v49, off
	v_cndmask_b32_e64 v3, v3, v48, s9
	s_branch .LBB10_12
.LBB10_39:
	s_and_b32 vcc_lo, exec_lo, s9
	s_cbranch_vccz .LBB10_41
; %bb.40:
	s_clause 0x4
	scratch_load_b128 v[4:7], off, off offset:80
	scratch_load_b128 v[8:11], off, off offset:96
	;; [unrolled: 1-line block ×4, first 2 shown]
	scratch_load_b64 v[0:1], off, off offset:144
	v_xor_b32_e32 v17, 16, v2
	v_xor_b32_e32 v18, 8, v2
	s_delay_alu instid0(VALU_DEP_2) | instskip(SKIP_1) | instid1(VALU_DEP_3)
	v_cmp_gt_i32_e32 vcc_lo, 32, v17
	v_cndmask_b32_e32 v17, v2, v17, vcc_lo
	v_cmp_gt_i32_e32 vcc_lo, 32, v18
	v_cndmask_b32_e32 v18, v2, v18, vcc_lo
	s_delay_alu instid0(VALU_DEP_1) | instskip(NEXT) | instid1(VALU_DEP_4)
	v_lshlrev_b32_e32 v18, 2, v18
	v_lshlrev_b32_e32 v17, 2, v17
	ds_bpermute_b32 v17, v17, v3
	s_waitcnt lgkmcnt(0)
	v_add_f32_e32 v3, v3, v17
	ds_bpermute_b32 v17, v18, v3
	v_xor_b32_e32 v18, 4, v2
	s_delay_alu instid0(VALU_DEP_1) | instskip(SKIP_2) | instid1(VALU_DEP_1)
	v_cmp_gt_i32_e32 vcc_lo, 32, v18
	v_cndmask_b32_e32 v18, v2, v18, vcc_lo
	s_waitcnt lgkmcnt(0)
	v_dual_add_f32 v3, v3, v17 :: v_dual_lshlrev_b32 v18, 2, v18
	ds_bpermute_b32 v17, v18, v3
	v_xor_b32_e32 v18, 2, v2
	s_delay_alu instid0(VALU_DEP_1) | instskip(SKIP_2) | instid1(VALU_DEP_1)
	v_cmp_gt_i32_e32 vcc_lo, 32, v18
	s_waitcnt lgkmcnt(0)
	v_dual_cndmask_b32 v18, v2, v18 :: v_dual_add_f32 v3, v3, v17
	v_lshlrev_b32_e32 v18, 2, v18
	ds_bpermute_b32 v17, v18, v3
	v_xor_b32_e32 v18, 1, v2
	s_delay_alu instid0(VALU_DEP_1) | instskip(SKIP_2) | instid1(VALU_DEP_1)
	v_cmp_gt_i32_e32 vcc_lo, 32, v18
	s_waitcnt lgkmcnt(0)
	v_dual_add_f32 v3, v3, v17 :: v_dual_cndmask_b32 v18, v2, v18
	v_lshlrev_b32_e32 v18, 2, v18
	ds_bpermute_b32 v17, v18, v3
	v_max_f32_e64 v18, s58, s58
	s_waitcnt lgkmcnt(0)
	v_add_f32_e32 v3, v3, v17
	s_delay_alu instid0(VALU_DEP_1) | instskip(NEXT) | instid1(VALU_DEP_1)
	v_max_f32_e32 v3, v3, v18
	v_div_scale_f32 v17, null, v3, v3, 1.0
	v_div_scale_f32 v43, vcc_lo, 1.0, v3, 1.0
	s_delay_alu instid0(VALU_DEP_2) | instskip(SKIP_2) | instid1(VALU_DEP_1)
	v_rcp_f32_e32 v18, v17
	s_waitcnt_depctr 0xfff
	v_fma_f32 v42, -v17, v18, 1.0
	v_fmac_f32_e32 v18, v42, v18
	s_delay_alu instid0(VALU_DEP_1) | instskip(NEXT) | instid1(VALU_DEP_1)
	v_mul_f32_e32 v42, v43, v18
	v_fma_f32 v44, -v17, v42, v43
	s_delay_alu instid0(VALU_DEP_1) | instskip(NEXT) | instid1(VALU_DEP_1)
	v_fmac_f32_e32 v42, v44, v18
	v_fma_f32 v17, -v17, v42, v43
	s_delay_alu instid0(VALU_DEP_1) | instskip(NEXT) | instid1(VALU_DEP_1)
	v_div_fmas_f32 v17, v17, v18, v42
	v_div_fixup_f32 v17, v17, v3, 1.0
	s_waitcnt vmcnt(4)
	s_delay_alu instid0(VALU_DEP_1)
	v_mul_f32_e32 v3, v17, v4
	v_mul_f32_e32 v4, v17, v5
	;; [unrolled: 1-line block ×3, first 2 shown]
	s_waitcnt vmcnt(1)
	v_mul_f32_e32 v39, v17, v39
	v_mul_f32_e32 v6, v17, v7
	;; [unrolled: 1-line block ×13, first 2 shown]
	s_waitcnt vmcnt(0)
	v_mul_f32_e32 v0, v17, v0
	v_mul_f32_e32 v1, v17, v1
	s_clause 0x4
	scratch_store_b128 off, v[3:6], off offset:80
	scratch_store_b128 off, v[7:10], off offset:96
	scratch_store_b128 off, v[11:14], off offset:112
	scratch_store_b128 off, v[38:41], off offset:128
	scratch_store_b64 off, v[0:1], off offset:144
.LBB10_41:
	v_cmp_gt_i32_e64 s16, s57, v37
	v_cmp_gt_i32_e64 s15, s57, v36
	;; [unrolled: 1-line block ×18, first 2 shown]
	s_and_not1_b32 vcc_lo, exec_lo, s18
	s_cbranch_vccnz .LBB10_62
; %bb.42:
	s_clause 0x4
	scratch_load_b128 v[6:9], off, off offset:80
	scratch_load_b128 v[10:13], off, off offset:96
	;; [unrolled: 1-line block ×4, first 2 shown]
	scratch_load_b64 v[14:15], off, off offset:144
	s_waitcnt vmcnt(4)
	v_dual_max_f32 v0, v6, v6 :: v_dual_max_f32 v1, v7, v7
	v_max_f32_e32 v3, v8, v8
	s_delay_alu instid0(VALU_DEP_2) | instskip(NEXT) | instid1(VALU_DEP_1)
	v_max_f32_e32 v0, 0xff800000, v0
	v_cndmask_b32_e64 v0, 0xff800000, v0, s17
	s_delay_alu instid0(VALU_DEP_1) | instskip(NEXT) | instid1(VALU_DEP_1)
	v_max_f32_e32 v1, v0, v1
	v_cndmask_b32_e64 v0, v0, v1, s16
	s_delay_alu instid0(VALU_DEP_1) | instskip(SKIP_1) | instid1(VALU_DEP_2)
	v_max_f32_e32 v1, v0, v3
	v_max_f32_e32 v3, v9, v9
	v_cndmask_b32_e64 v0, v0, v1, s15
	s_delay_alu instid0(VALU_DEP_1) | instskip(SKIP_2) | instid1(VALU_DEP_2)
	v_max_f32_e32 v1, v0, v3
	s_waitcnt vmcnt(3)
	v_max_f32_e32 v3, v10, v10
	v_cndmask_b32_e64 v0, v0, v1, s14
	s_delay_alu instid0(VALU_DEP_1) | instskip(NEXT) | instid1(VALU_DEP_1)
	v_max_f32_e32 v1, v0, v3
	v_cndmask_b32_e64 v0, v0, v1, s13
	v_max_f32_e32 v1, v11, v11
	s_delay_alu instid0(VALU_DEP_2) | instskip(NEXT) | instid1(VALU_DEP_1)
	v_max_f32_e32 v3, v0, v0
	v_max_f32_e32 v1, v3, v1
	s_delay_alu instid0(VALU_DEP_1) | instskip(SKIP_1) | instid1(VALU_DEP_2)
	v_cndmask_b32_e64 v0, v0, v1, s12
	v_max_f32_e32 v1, v12, v12
	v_max_f32_e32 v3, v0, v0
	s_delay_alu instid0(VALU_DEP_1) | instskip(NEXT) | instid1(VALU_DEP_1)
	v_max_f32_e32 v1, v3, v1
	v_cndmask_b32_e64 v0, v0, v1, s11
	v_max_f32_e32 v1, v13, v13
	s_delay_alu instid0(VALU_DEP_2) | instskip(NEXT) | instid1(VALU_DEP_1)
	v_max_f32_e32 v3, v0, v0
	v_max_f32_e32 v1, v3, v1
	s_delay_alu instid0(VALU_DEP_1) | instskip(SKIP_2) | instid1(VALU_DEP_2)
	v_cndmask_b32_e64 v0, v0, v1, s10
	s_waitcnt vmcnt(2)
	v_max_f32_e32 v1, v38, v38
	v_max_f32_e32 v3, v0, v0
	s_delay_alu instid0(VALU_DEP_1) | instskip(NEXT) | instid1(VALU_DEP_1)
	v_max_f32_e32 v1, v3, v1
	v_cndmask_b32_e64 v0, v0, v1, s9
	v_max_f32_e32 v1, v39, v39
	s_delay_alu instid0(VALU_DEP_2) | instskip(NEXT) | instid1(VALU_DEP_1)
	v_max_f32_e32 v3, v0, v0
	v_max_f32_e32 v1, v3, v1
	s_delay_alu instid0(VALU_DEP_1) | instskip(SKIP_1) | instid1(VALU_DEP_2)
	v_cndmask_b32_e64 v0, v0, v1, s8
	v_max_f32_e32 v1, v40, v40
	v_max_f32_e32 v3, v0, v0
	s_delay_alu instid0(VALU_DEP_1) | instskip(NEXT) | instid1(VALU_DEP_1)
	v_max_f32_e32 v1, v3, v1
	v_cndmask_b32_e64 v0, v0, v1, s7
	v_max_f32_e32 v1, v41, v41
	s_delay_alu instid0(VALU_DEP_2) | instskip(NEXT) | instid1(VALU_DEP_1)
	v_max_f32_e32 v3, v0, v0
	v_max_f32_e32 v1, v3, v1
	s_delay_alu instid0(VALU_DEP_1) | instskip(SKIP_2) | instid1(VALU_DEP_2)
	v_cndmask_b32_e64 v0, v0, v1, s6
	s_waitcnt vmcnt(1)
	v_max_f32_e32 v1, v42, v42
	v_max_f32_e32 v3, v0, v0
	;; [unrolled: 23-line block ×3, first 2 shown]
	s_delay_alu instid0(VALU_DEP_1) | instskip(SKIP_1) | instid1(VALU_DEP_2)
	v_max_f32_e32 v1, v3, v1
	v_xor_b32_e32 v3, 16, v2
	v_cndmask_b32_e64 v0, v0, v1, s1
	s_delay_alu instid0(VALU_DEP_2) | instskip(NEXT) | instid1(VALU_DEP_2)
	v_cmp_gt_i32_e32 vcc_lo, 32, v3
	v_dual_max_f32 v1, v15, v15 :: v_dual_max_f32 v4, v0, v0
	s_delay_alu instid0(VALU_DEP_1) | instskip(NEXT) | instid1(VALU_DEP_1)
	v_dual_cndmask_b32 v3, v2, v3 :: v_dual_max_f32 v4, v4, v1
	v_lshlrev_b32_e32 v1, 2, v3
	s_delay_alu instid0(VALU_DEP_2)
	v_cndmask_b32_e64 v0, v0, v4, s0
	v_xor_b32_e32 v4, 8, v2
	ds_bpermute_b32 v3, v1, v0
	v_cmp_gt_i32_e32 vcc_lo, 32, v4
	v_max_f32_e32 v0, v0, v0
	s_waitcnt lgkmcnt(0)
	v_dual_cndmask_b32 v4, v2, v4 :: v_dual_max_f32 v5, v3, v3
	s_delay_alu instid0(VALU_DEP_1)
	v_dual_max_f32 v0, v0, v5 :: v_dual_lshlrev_b32 v3, 2, v4
	v_xor_b32_e32 v5, 4, v2
	ds_bpermute_b32 v4, v3, v0
	v_cmp_gt_i32_e32 vcc_lo, 32, v5
	v_cndmask_b32_e32 v5, v2, v5, vcc_lo
	s_waitcnt lgkmcnt(0)
	s_delay_alu instid0(VALU_DEP_1) | instskip(NEXT) | instid1(VALU_DEP_1)
	v_dual_max_f32 v17, v4, v4 :: v_dual_lshlrev_b32 v4, 2, v5
	v_max_f32_e32 v0, v0, v17
	v_xor_b32_e32 v17, 2, v2
	ds_bpermute_b32 v5, v4, v0
	v_cmp_gt_i32_e32 vcc_lo, 32, v17
	v_cndmask_b32_e32 v17, v2, v17, vcc_lo
	s_waitcnt lgkmcnt(0)
	v_max_f32_e32 v18, v5, v5
	s_delay_alu instid0(VALU_DEP_1)
	v_dual_max_f32 v0, v0, v18 :: v_dual_lshlrev_b32 v5, 2, v17
	v_xor_b32_e32 v18, 1, v2
	ds_bpermute_b32 v17, v5, v0
	v_cmp_gt_i32_e32 vcc_lo, 32, v18
	v_cndmask_b32_e32 v2, v2, v18, vcc_lo
	s_waitcnt lgkmcnt(0)
	s_delay_alu instid0(VALU_DEP_1) | instskip(NEXT) | instid1(VALU_DEP_1)
	v_dual_max_f32 v17, v17, v17 :: v_dual_lshlrev_b32 v2, 2, v2
	v_max_f32_e32 v0, v0, v17
	ds_bpermute_b32 v17, v2, v0
	s_waitcnt lgkmcnt(0)
	v_max_f32_e32 v17, v17, v17
	s_delay_alu instid0(VALU_DEP_1) | instskip(NEXT) | instid1(VALU_DEP_1)
	v_max_f32_e32 v17, v0, v17
	v_sub_f32_e32 v14, v14, v17
	v_sub_f32_e32 v15, v15, v17
	;; [unrolled: 1-line block ×4, first 2 shown]
	s_delay_alu instid0(VALU_DEP_4) | instskip(NEXT) | instid1(VALU_DEP_4)
	v_dual_sub_f32 v6, v7, v17 :: v_dual_mul_f32 v59, 0x3fb8aa3b, v14
	v_mul_f32_e32 v60, 0x3fb8aa3b, v15
	s_delay_alu instid0(VALU_DEP_4) | instskip(NEXT) | instid1(VALU_DEP_4)
	v_mul_f32_e32 v52, 0x3fb8aa3b, v18
	v_cmp_ngt_f32_e32 vcc_lo, 0xc2ce8ed0, v0
	v_cmp_nlt_f32_e64 s19, 0x42b17218, v0
	v_fma_f32 v91, 0x3fb8aa3b, v14, -v59
	v_cmp_ngt_f32_e64 s18, 0xc2ce8ed0, v6
	v_cmp_nlt_f32_e64 s20, 0x42b17218, v6
	v_fma_f32 v79, 0x3fb8aa3b, v18, -v52
	v_cmp_ngt_f32_e64 s36, 0xc2ce8ed0, v18
	v_fmac_f32_e32 v91, 0x32a5705f, v14
	v_sub_f32_e32 v39, v40, v17
	v_sub_f32_e32 v40, v41, v17
	v_sub_f32_e32 v41, v42, v17
	v_sub_f32_e32 v42, v43, v17
	v_sub_f32_e32 v43, v44, v17
	v_dual_sub_f32 v44, v45, v17 :: v_dual_mul_f32 v53, 0x3fb8aa3b, v39
	v_cmp_nlt_f32_e64 s37, 0x42b17218, v18
	s_delay_alu instid0(VALU_DEP_3) | instskip(NEXT) | instid1(VALU_DEP_3)
	v_dual_mul_f32 v56, 0x3fb8aa3b, v42 :: v_dual_mul_f32 v57, 0x3fb8aa3b, v43
	v_mul_f32_e32 v58, 0x3fb8aa3b, v44
	v_rndne_f32_e32 v80, v52
	v_fmac_f32_e32 v79, 0x32a5705f, v18
	s_delay_alu instid0(VALU_DEP_4)
	v_fma_f32 v87, 0x3fb8aa3b, v42, -v56
	v_rndne_f32_e32 v88, v56
	v_rndne_f32_e32 v89, v57
	;; [unrolled: 1-line block ×3, first 2 shown]
	v_sub_f32_e32 v7, v8, v17
	v_sub_f32_e32 v8, v9, v17
	;; [unrolled: 1-line block ×5, first 2 shown]
	v_dual_sub_f32 v12, v13, v17 :: v_dual_fmac_f32 v87, 0x32a5705f, v42
	v_sub_f32_e32 v13, v38, v17
	v_dual_mul_f32 v17, 0x3fb8aa3b, v0 :: v_dual_mul_f32 v38, 0x3fb8aa3b, v6
	v_dual_mul_f32 v45, 0x3fb8aa3b, v7 :: v_dual_mul_f32 v46, 0x3fb8aa3b, v8
	v_cmp_ngt_f32_e64 s21, 0xc2ce8ed0, v7
	s_delay_alu instid0(VALU_DEP_3) | instskip(SKIP_4) | instid1(VALU_DEP_4)
	v_fma_f32 v61, 0x3fb8aa3b, v0, -v17
	v_rndne_f32_e32 v62, v17
	v_fma_f32 v63, 0x3fb8aa3b, v6, -v38
	v_rndne_f32_e32 v64, v38
	v_fma_f32 v65, 0x3fb8aa3b, v7, -v45
	v_dual_fmac_f32 v61, 0x32a5705f, v0 :: v_dual_sub_f32 v0, v17, v62
	s_delay_alu instid0(VALU_DEP_3) | instskip(SKIP_2) | instid1(VALU_DEP_4)
	v_dual_fmac_f32 v63, 0x32a5705f, v6 :: v_dual_sub_f32 v6, v38, v64
	v_cvt_i32_f32_e32 v38, v62
	v_rndne_f32_e32 v66, v45
	v_add_f32_e32 v0, v0, v61
	v_cmp_nlt_f32_e64 s22, 0x42b17218, v7
	v_add_f32_e32 v6, v6, v63
	v_fmac_f32_e32 v65, 0x32a5705f, v7
	v_fma_f32 v67, 0x3fb8aa3b, v8, -v46
	v_exp_f32_e32 v0, v0
	v_rndne_f32_e32 v68, v46
	v_exp_f32_e32 v6, v6
	v_cvt_i32_f32_e32 v64, v64
	v_mul_f32_e32 v47, 0x3fb8aa3b, v9
	v_cmp_ngt_f32_e64 s23, 0xc2ce8ed0, v8
	v_cmp_nlt_f32_e64 s24, 0x42b17218, v8
	v_fmac_f32_e32 v67, 0x32a5705f, v8
	v_sub_f32_e32 v8, v46, v68
	v_mul_f32_e32 v48, 0x3fb8aa3b, v10
	v_ldexp_f32 v0, v0, v38
	v_fma_f32 v69, 0x3fb8aa3b, v9, -v47
	v_ldexp_f32 v6, v6, v64
	v_rndne_f32_e32 v70, v47
	v_cvt_i32_f32_e32 v46, v66
	v_cndmask_b32_e32 v0, 0, v0, vcc_lo
	v_cmp_nlt_f32_e32 vcc_lo, 0x42b17218, v44
	v_dual_sub_f32 v7, v45, v66 :: v_dual_add_f32 v8, v8, v67
	v_cndmask_b32_e64 v6, 0, v6, s18
	s_delay_alu instid0(VALU_DEP_4) | instskip(SKIP_1) | instid1(VALU_DEP_4)
	v_cndmask_b32_e64 v38, 0x7f800000, v0, s19
	v_cmp_ngt_f32_e64 s25, 0xc2ce8ed0, v9
	v_add_f32_e32 v7, v7, v65
	v_cmp_nlt_f32_e64 s26, 0x42b17218, v9
	v_fma_f32 v71, 0x3fb8aa3b, v10, -v48
	v_fma_f32 v45, 0x3fb8aa3b, v15, -v60
	v_fmac_f32_e32 v69, 0x32a5705f, v9
	v_exp_f32_e32 v7, v7
	v_sub_f32_e32 v9, v47, v70
	v_exp_f32_e32 v8, v8
	v_cndmask_b32_e64 v6, 0x7f800000, v6, s20
	v_cndmask_b32_e64 v0, 0, v38, s17
	v_cmp_ngt_f32_e64 s27, 0xc2ce8ed0, v10
	v_cmp_nlt_f32_e64 s28, 0x42b17218, v10
	v_rndne_f32_e32 v72, v48
	v_add_f32_e32 v9, v9, v69
	v_fmac_f32_e32 v71, 0x32a5705f, v10
	v_ldexp_f32 v7, v7, v46
	v_cvt_i32_f32_e32 v46, v68
	v_dual_add_f32 v10, v6, v0 :: v_dual_fmac_f32 v45, 0x32a5705f, v15
	v_mul_f32_e32 v49, 0x3fb8aa3b, v11
	s_delay_alu instid0(VALU_DEP_4)
	v_cndmask_b32_e64 v7, 0, v7, s21
	v_sub_f32_e32 v47, v48, v72
	v_exp_f32_e32 v9, v9
	v_ldexp_f32 v8, v8, v46
	v_fma_f32 v73, 0x3fb8aa3b, v11, -v49
	v_cndmask_b32_e64 v7, 0x7f800000, v7, s22
	v_cndmask_b32_e64 v10, v0, v10, s16
	v_mul_f32_e32 v50, 0x3fb8aa3b, v12
	v_cmp_ngt_f32_e64 s29, 0xc2ce8ed0, v11
	v_cmp_nlt_f32_e64 s30, 0x42b17218, v11
	v_rndne_f32_e32 v74, v49
	v_cvt_i32_f32_e32 v46, v70
	v_add_f32_e32 v47, v47, v71
	v_fmac_f32_e32 v73, 0x32a5705f, v11
	v_cndmask_b32_e64 v8, 0, v8, s23
	v_add_f32_e32 v11, v7, v10
	v_fma_f32 v75, 0x3fb8aa3b, v12, -v50
	v_sub_f32_e32 v48, v49, v74
	v_exp_f32_e32 v47, v47
	v_ldexp_f32 v9, v9, v46
	v_cndmask_b32_e64 v8, 0x7f800000, v8, s24
	v_cndmask_b32_e64 v10, v10, v11, s15
	v_mul_f32_e32 v51, 0x3fb8aa3b, v13
	v_cmp_ngt_f32_e64 s31, 0xc2ce8ed0, v12
	v_cmp_nlt_f32_e64 s33, 0x42b17218, v12
	v_rndne_f32_e32 v76, v50
	v_cvt_i32_f32_e32 v11, v72
	v_dual_add_f32 v46, v48, v73 :: v_dual_fmac_f32 v75, 0x32a5705f, v12
	v_cndmask_b32_e64 v9, 0, v9, s25
	v_add_f32_e32 v12, v8, v10
	v_fma_f32 v77, 0x3fb8aa3b, v13, -v51
	v_sub_f32_e32 v48, v50, v76
	v_exp_f32_e32 v46, v46
	v_ldexp_f32 v11, v47, v11
	v_cndmask_b32_e64 v9, 0x7f800000, v9, s26
	v_cndmask_b32_e64 v10, v10, v12, s14
	v_cmp_ngt_f32_e64 s34, 0xc2ce8ed0, v13
	v_cmp_nlt_f32_e64 s35, 0x42b17218, v13
	v_rndne_f32_e32 v78, v51
	v_cvt_i32_f32_e32 v12, v74
	v_add_f32_e32 v47, v48, v75
	v_fmac_f32_e32 v77, 0x32a5705f, v13
	v_cndmask_b32_e64 v11, 0, v11, s27
	v_add_f32_e32 v13, v9, v10
	v_sub_f32_e32 v48, v51, v78
	v_exp_f32_e32 v47, v47
	v_ldexp_f32 v12, v46, v12
	v_cndmask_b32_e64 v11, 0x7f800000, v11, s28
	v_cndmask_b32_e64 v10, v10, v13, s13
	v_cvt_i32_f32_e32 v13, v76
	v_add_f32_e32 v46, v48, v77
	v_cndmask_b32_e64 v12, 0, v12, s29
	v_fma_f32 v81, 0x3fb8aa3b, v39, -v53
	v_add_f32_e32 v18, v11, v10
	v_sub_f32_e32 v48, v52, v80
	v_exp_f32_e32 v46, v46
	v_ldexp_f32 v13, v47, v13
	v_cndmask_b32_e64 v47, 0x7f800000, v12, s30
	v_cndmask_b32_e64 v10, v10, v18, s12
	v_mul_f32_e32 v54, 0x3fb8aa3b, v40
	v_cmp_ngt_f32_e64 s38, 0xc2ce8ed0, v39
	v_cmp_nlt_f32_e64 s39, 0x42b17218, v39
	v_rndne_f32_e32 v82, v53
	v_cvt_i32_f32_e32 v12, v78
	v_add_f32_e32 v18, v48, v79
	v_fmac_f32_e32 v81, 0x32a5705f, v39
	v_cndmask_b32_e64 v13, 0, v13, s31
	v_add_f32_e32 v39, v47, v10
	v_fma_f32 v83, 0x3fb8aa3b, v40, -v54
	v_rndne_f32_e32 v62, v60
	v_sub_f32_e32 v48, v53, v82
	v_exp_f32_e32 v18, v18
	v_ldexp_f32 v12, v46, v12
	v_cndmask_b32_e64 v46, 0x7f800000, v13, s33
	v_cndmask_b32_e64 v10, v10, v39, s11
	v_cmp_ngt_f32_e64 s40, 0xc2ce8ed0, v40
	v_cmp_nlt_f32_e64 s41, 0x42b17218, v40
	v_rndne_f32_e32 v84, v54
	v_cvt_i32_f32_e32 v13, v80
	v_add_f32_e32 v39, v48, v81
	v_fmac_f32_e32 v83, 0x32a5705f, v40
	v_cndmask_b32_e64 v12, 0, v12, s34
	v_add_f32_e32 v40, v46, v10
	v_dual_sub_f32 v50, v60, v62 :: v_dual_mul_f32 v55, 0x3fb8aa3b, v41
	v_sub_f32_e32 v48, v54, v84
	v_exp_f32_e32 v39, v39
	v_ldexp_f32 v13, v18, v13
	v_cndmask_b32_e64 v18, 0x7f800000, v12, s35
	v_fma_f32 v85, 0x3fb8aa3b, v41, -v55
	v_cndmask_b32_e64 v10, v10, v40, s10
	v_cmp_ngt_f32_e64 s42, 0xc2ce8ed0, v41
	v_cmp_nlt_f32_e64 s43, 0x42b17218, v41
	v_rndne_f32_e32 v86, v55
	v_cvt_i32_f32_e32 v12, v82
	v_dual_add_f32 v40, v48, v83 :: v_dual_fmac_f32 v85, 0x32a5705f, v41
	v_cndmask_b32_e64 v13, 0, v13, s36
	v_add_f32_e32 v41, v18, v10
	v_sub_f32_e32 v48, v55, v86
	s_delay_alu instid0(VALU_DEP_4)
	v_exp_f32_e32 v40, v40
	v_ldexp_f32 v12, v39, v12
	v_cndmask_b32_e64 v39, 0x7f800000, v13, s37
	v_cndmask_b32_e64 v10, v10, v41, s9
	v_cmp_ngt_f32_e64 s44, 0xc2ce8ed0, v42
	v_cmp_nlt_f32_e64 s45, 0x42b17218, v42
	v_cvt_i32_f32_e32 v13, v84
	v_add_f32_e32 v41, v48, v85
	v_cndmask_b32_e64 v12, 0, v12, s38
	v_add_f32_e32 v42, v39, v10
	v_fma_f32 v17, 0x3fb8aa3b, v43, -v57
	v_sub_f32_e32 v48, v56, v88
	v_exp_f32_e32 v41, v41
	v_ldexp_f32 v13, v40, v13
	v_cndmask_b32_e64 v40, 0x7f800000, v12, s39
	v_cndmask_b32_e64 v10, v10, v42, s8
	v_cmp_ngt_f32_e64 s46, 0xc2ce8ed0, v43
	v_cmp_nlt_f32_e64 s47, 0x42b17218, v43
	v_cvt_i32_f32_e32 v12, v86
	v_add_f32_e32 v42, v48, v87
	v_fmac_f32_e32 v17, 0x32a5705f, v43
	v_cndmask_b32_e64 v13, 0, v13, s40
	v_dual_add_f32 v43, v40, v10 :: v_dual_sub_f32 v48, v57, v89
	s_delay_alu instid0(VALU_DEP_4) | instskip(SKIP_1) | instid1(VALU_DEP_3)
	v_exp_f32_e32 v42, v42
	v_ldexp_f32 v12, v41, v12
	v_cndmask_b32_e64 v41, 0x7f800000, v13, s41
	s_delay_alu instid0(VALU_DEP_3)
	v_cndmask_b32_e64 v10, v10, v43, s7
	v_fma_f32 v61, 0x3fb8aa3b, v44, -v58
	v_cvt_i32_f32_e32 v13, v88
	v_add_f32_e32 v17, v48, v17
	v_cndmask_b32_e64 v12, 0, v12, s42
	v_add_f32_e32 v43, v41, v10
	v_dual_fmac_f32 v61, 0x32a5705f, v44 :: v_dual_sub_f32 v48, v58, v90
	s_delay_alu instid0(VALU_DEP_4)
	v_exp_f32_e32 v17, v17
	v_ldexp_f32 v13, v42, v13
	v_cndmask_b32_e64 v42, 0x7f800000, v12, s43
	v_cndmask_b32_e64 v10, v10, v43, s6
	v_rndne_f32_e32 v63, v59
	v_cvt_i32_f32_e32 v12, v89
	v_add_f32_e32 v43, v48, v61
	v_cndmask_b32_e64 v13, 0, v13, s44
	s_delay_alu instid0(VALU_DEP_4)
	v_dual_add_f32 v48, v42, v10 :: v_dual_sub_f32 v49, v59, v63
	s_delay_alu instid0(TRANS32_DEP_1) | instid1(VALU_DEP_4)
	v_ldexp_f32 v12, v17, v12
	s_delay_alu instid0(VALU_DEP_4) | instskip(NEXT) | instid1(VALU_DEP_3)
	v_exp_f32_e32 v43, v43
	v_cndmask_b32_e64 v17, 0x7f800000, v13, s45
	s_delay_alu instid0(VALU_DEP_3)
	v_cndmask_b32_e64 v10, v10, v48, s5
	v_cvt_i32_f32_e32 v13, v90
	v_add_f32_e32 v48, v49, v91
	v_cndmask_b32_e64 v12, 0, v12, s46
	v_cmp_ngt_f32_e64 s48, 0xc2ce8ed0, v44
	v_add_f32_e32 v49, v17, v10
	v_cvt_i32_f32_e32 v44, v63
	v_exp_f32_e32 v48, v48
	v_ldexp_f32 v13, v43, v13
	v_cndmask_b32_e64 v43, 0x7f800000, v12, s47
	v_add_f32_e32 v12, v50, v45
	v_cndmask_b32_e64 v10, v10, v49, s4
	v_cmp_ngt_f32_e64 s18, 0xc2ce8ed0, v14
	v_cndmask_b32_e64 v13, 0, v13, s48
	s_delay_alu instid0(VALU_DEP_4) | instskip(NEXT) | instid1(VALU_DEP_3)
	v_exp_f32_e32 v12, v12
	v_add_f32_e32 v45, v43, v10
	s_delay_alu instid0(TRANS32_DEP_2) | instskip(NEXT) | instid1(VALU_DEP_3)
	v_ldexp_f32 v44, v48, v44
	v_cndmask_b32_e32 v48, 0x7f800000, v13, vcc_lo
	v_cmp_nlt_f32_e32 vcc_lo, 0x42b17218, v14
	v_cvt_i32_f32_e32 v13, v62
	v_cndmask_b32_e64 v10, v10, v45, s3
	v_cndmask_b32_e64 v14, 0, v44, s18
	s_delay_alu instid0(TRANS32_DEP_1) | instid1(VALU_DEP_3)
	v_ldexp_f32 v12, v12, v13
	s_delay_alu instid0(VALU_DEP_3) | instskip(SKIP_1) | instid1(VALU_DEP_4)
	v_add_f32_e32 v44, v48, v10
	v_cmp_ngt_f32_e64 s18, 0xc2ce8ed0, v15
	v_cndmask_b32_e32 v45, 0x7f800000, v14, vcc_lo
	v_cmp_nlt_f32_e32 vcc_lo, 0x42b17218, v15
	v_cndmask_b32_e64 v14, 0, v47, s11
	v_cndmask_b32_e64 v10, v10, v44, s2
	;; [unrolled: 1-line block ×4, first 2 shown]
	s_delay_alu instid0(VALU_DEP_2) | instskip(NEXT) | instid1(VALU_DEP_1)
	v_dual_add_f32 v13, v45, v10 :: v_dual_cndmask_b32 v44, 0x7f800000, v12
	v_cndmask_b32_e64 v10, v10, v13, s1
	v_cndmask_b32_e64 v13, 0, v11, s12
	;; [unrolled: 1-line block ×3, first 2 shown]
	s_delay_alu instid0(VALU_DEP_3) | instskip(NEXT) | instid1(VALU_DEP_1)
	v_add_f32_e32 v12, v44, v10
	v_cndmask_b32_e64 v10, v10, v12, s0
	v_cndmask_b32_e64 v12, 0, v9, s13
	;; [unrolled: 1-line block ×3, first 2 shown]
	ds_bpermute_b32 v1, v1, v10
	s_waitcnt lgkmcnt(0)
	v_add_f32_e32 v1, v10, v1
	v_cndmask_b32_e64 v10, 0, v40, s7
	ds_bpermute_b32 v3, v3, v1
	s_waitcnt lgkmcnt(0)
	v_add_f32_e32 v1, v1, v3
	ds_bpermute_b32 v3, v4, v1
	s_waitcnt lgkmcnt(0)
	v_add_f32_e32 v1, v1, v3
	;; [unrolled: 3-line block ×3, first 2 shown]
	v_cndmask_b32_e64 v3, 0, v8, s14
	v_cndmask_b32_e64 v8, 0, v18, s9
	;; [unrolled: 1-line block ×3, first 2 shown]
	ds_bpermute_b32 v2, v2, v1
	s_waitcnt lgkmcnt(0)
	v_add_f32_e32 v49, v1, v2
	v_cndmask_b32_e64 v2, 0, v7, s15
	v_cndmask_b32_e64 v7, 0, v48, s2
	s_delay_alu instid0(VALU_DEP_3) | instskip(SKIP_1) | instid1(VALU_DEP_2)
	v_div_scale_f32 v4, null, v49, v49, 1.0
	v_div_scale_f32 v5, vcc_lo, 1.0, v49, 1.0
	v_rcp_f32_e32 v50, v4
	s_waitcnt_depctr 0xfff
	v_fma_f32 v1, -v4, v50, 1.0
	s_delay_alu instid0(VALU_DEP_1) | instskip(SKIP_1) | instid1(VALU_DEP_2)
	v_fmac_f32_e32 v50, v1, v50
	v_cndmask_b32_e64 v1, 0, v6, s16
	v_mul_f32_e32 v51, v5, v50
	s_delay_alu instid0(VALU_DEP_1) | instskip(NEXT) | instid1(VALU_DEP_1)
	v_fma_f32 v6, -v4, v51, v5
	v_fmac_f32_e32 v51, v6, v50
	s_delay_alu instid0(VALU_DEP_1) | instskip(SKIP_3) | instid1(VALU_DEP_4)
	v_fma_f32 v6, -v4, v51, v5
	v_cndmask_b32_e64 v4, 0, v42, s5
	v_cndmask_b32_e64 v5, 0, v17, s4
	;; [unrolled: 1-line block ×3, first 2 shown]
	v_div_fmas_f32 v39, v6, v50, v51
	v_cndmask_b32_e64 v6, 0, v43, s3
	s_clause 0x4
	scratch_store_b128 off, v[0:3], off offset:80
	scratch_store_b128 off, v[12:15], off offset:96
	;; [unrolled: 1-line block ×4, first 2 shown]
	scratch_store_b64 off, v[17:18], off offset:144
	v_div_fixup_f32 v39, v39, v49, 1.0
	s_and_saveexec_b32 s18, s17
	s_cbranch_execnz .LBB10_99
; %bb.43:
	s_or_b32 exec_lo, exec_lo, s18
	s_and_saveexec_b32 s17, s16
	s_cbranch_execnz .LBB10_100
.LBB10_44:
	s_or_b32 exec_lo, exec_lo, s17
	s_and_saveexec_b32 s16, s15
	s_cbranch_execnz .LBB10_101
.LBB10_45:
	s_or_b32 exec_lo, exec_lo, s16
	s_and_saveexec_b32 s15, s14
	s_cbranch_execnz .LBB10_102
.LBB10_46:
	s_or_b32 exec_lo, exec_lo, s15
	s_and_saveexec_b32 s14, s13
	s_cbranch_execnz .LBB10_103
.LBB10_47:
	s_or_b32 exec_lo, exec_lo, s14
	s_and_saveexec_b32 s13, s12
	s_cbranch_execnz .LBB10_104
.LBB10_48:
	s_or_b32 exec_lo, exec_lo, s13
	s_and_saveexec_b32 s12, s11
	s_cbranch_execnz .LBB10_105
.LBB10_49:
	s_or_b32 exec_lo, exec_lo, s12
	s_and_saveexec_b32 s11, s10
	s_cbranch_execnz .LBB10_106
.LBB10_50:
	s_or_b32 exec_lo, exec_lo, s11
	s_and_saveexec_b32 s10, s9
	s_cbranch_execnz .LBB10_107
.LBB10_51:
	s_or_b32 exec_lo, exec_lo, s10
	s_and_saveexec_b32 s9, s8
	s_cbranch_execnz .LBB10_108
.LBB10_52:
	s_or_b32 exec_lo, exec_lo, s9
	s_and_saveexec_b32 s8, s7
	s_cbranch_execnz .LBB10_109
.LBB10_53:
	s_or_b32 exec_lo, exec_lo, s8
	s_and_saveexec_b32 s7, s6
	s_cbranch_execnz .LBB10_110
.LBB10_54:
	s_or_b32 exec_lo, exec_lo, s7
	s_and_saveexec_b32 s6, s5
	s_cbranch_execnz .LBB10_111
.LBB10_55:
	s_or_b32 exec_lo, exec_lo, s6
	s_and_saveexec_b32 s5, s4
	s_cbranch_execnz .LBB10_112
.LBB10_56:
	s_or_b32 exec_lo, exec_lo, s5
	s_and_saveexec_b32 s4, s3
	s_cbranch_execnz .LBB10_113
.LBB10_57:
	s_or_b32 exec_lo, exec_lo, s4
	s_and_saveexec_b32 s3, s2
	s_cbranch_execnz .LBB10_114
.LBB10_58:
	s_or_b32 exec_lo, exec_lo, s3
	s_and_saveexec_b32 s2, s1
	s_cbranch_execnz .LBB10_115
.LBB10_59:
	s_or_b32 exec_lo, exec_lo, s2
	s_and_saveexec_b32 s1, s0
	s_cbranch_execz .LBB10_61
.LBB10_60:
	v_mul_f32_e32 v0, v18, v39
	scratch_store_b32 off, v0, off offset:148
.LBB10_61:
	s_or_b32 exec_lo, exec_lo, s1
.LBB10_62:
	v_mul_lo_u32 v0, v16, s57
	s_mov_b32 s0, exec_lo
	s_delay_alu instid0(VALU_DEP_1) | instskip(NEXT) | instid1(VALU_DEP_1)
	v_ashrrev_i32_e32 v1, 31, v0
	v_lshlrev_b64 v[0:1], 2, v[0:1]
	s_delay_alu instid0(VALU_DEP_1) | instskip(NEXT) | instid1(VALU_DEP_2)
	v_add_co_u32 v0, vcc_lo, s50, v0
	v_add_co_ci_u32_e32 v1, vcc_lo, s51, v1, vcc_lo
	v_cmpx_gt_i32_e64 s57, v20
	s_cbranch_execnz .LBB10_82
; %bb.63:
	s_or_b32 exec_lo, exec_lo, s0
	s_delay_alu instid0(SALU_CYCLE_1)
	s_mov_b32 s0, exec_lo
	v_cmpx_gt_i32_e64 s57, v37
	s_cbranch_execnz .LBB10_83
.LBB10_64:
	s_or_b32 exec_lo, exec_lo, s0
	s_delay_alu instid0(SALU_CYCLE_1)
	s_mov_b32 s0, exec_lo
	v_cmpx_gt_i32_e64 s57, v36
	s_cbranch_execnz .LBB10_84
.LBB10_65:
	s_or_b32 exec_lo, exec_lo, s0
	s_delay_alu instid0(SALU_CYCLE_1)
	s_mov_b32 s0, exec_lo
	v_cmpx_gt_i32_e64 s57, v35
	s_cbranch_execnz .LBB10_85
.LBB10_66:
	s_or_b32 exec_lo, exec_lo, s0
	s_delay_alu instid0(SALU_CYCLE_1)
	s_mov_b32 s0, exec_lo
	v_cmpx_gt_i32_e64 s57, v34
	s_cbranch_execnz .LBB10_86
.LBB10_67:
	s_or_b32 exec_lo, exec_lo, s0
	s_delay_alu instid0(SALU_CYCLE_1)
	s_mov_b32 s0, exec_lo
	v_cmpx_gt_i32_e64 s57, v33
	s_cbranch_execnz .LBB10_87
.LBB10_68:
	s_or_b32 exec_lo, exec_lo, s0
	s_delay_alu instid0(SALU_CYCLE_1)
	s_mov_b32 s0, exec_lo
	v_cmpx_gt_i32_e64 s57, v32
	s_cbranch_execnz .LBB10_88
.LBB10_69:
	s_or_b32 exec_lo, exec_lo, s0
	s_delay_alu instid0(SALU_CYCLE_1)
	s_mov_b32 s0, exec_lo
	v_cmpx_gt_i32_e64 s57, v31
	s_cbranch_execnz .LBB10_89
.LBB10_70:
	s_or_b32 exec_lo, exec_lo, s0
	s_delay_alu instid0(SALU_CYCLE_1)
	s_mov_b32 s0, exec_lo
	v_cmpx_gt_i32_e64 s57, v30
	s_cbranch_execnz .LBB10_90
.LBB10_71:
	s_or_b32 exec_lo, exec_lo, s0
	s_delay_alu instid0(SALU_CYCLE_1)
	s_mov_b32 s0, exec_lo
	v_cmpx_gt_i32_e64 s57, v29
	s_cbranch_execnz .LBB10_91
.LBB10_72:
	s_or_b32 exec_lo, exec_lo, s0
	s_delay_alu instid0(SALU_CYCLE_1)
	s_mov_b32 s0, exec_lo
	v_cmpx_gt_i32_e64 s57, v28
	s_cbranch_execnz .LBB10_92
.LBB10_73:
	s_or_b32 exec_lo, exec_lo, s0
	s_delay_alu instid0(SALU_CYCLE_1)
	s_mov_b32 s0, exec_lo
	v_cmpx_gt_i32_e64 s57, v27
	s_cbranch_execnz .LBB10_93
.LBB10_74:
	s_or_b32 exec_lo, exec_lo, s0
	s_delay_alu instid0(SALU_CYCLE_1)
	s_mov_b32 s0, exec_lo
	v_cmpx_gt_i32_e64 s57, v26
	s_cbranch_execnz .LBB10_94
.LBB10_75:
	s_or_b32 exec_lo, exec_lo, s0
	s_delay_alu instid0(SALU_CYCLE_1)
	s_mov_b32 s0, exec_lo
	v_cmpx_gt_i32_e64 s57, v25
	s_cbranch_execnz .LBB10_95
.LBB10_76:
	s_or_b32 exec_lo, exec_lo, s0
	s_delay_alu instid0(SALU_CYCLE_1)
	s_mov_b32 s0, exec_lo
	v_cmpx_gt_i32_e64 s57, v24
	s_cbranch_execnz .LBB10_96
.LBB10_77:
	s_or_b32 exec_lo, exec_lo, s0
	s_delay_alu instid0(SALU_CYCLE_1)
	s_mov_b32 s0, exec_lo
	v_cmpx_gt_i32_e64 s57, v23
	s_cbranch_execnz .LBB10_97
.LBB10_78:
	s_or_b32 exec_lo, exec_lo, s0
	s_delay_alu instid0(SALU_CYCLE_1)
	s_mov_b32 s0, exec_lo
	v_cmpx_gt_i32_e64 s57, v22
	s_cbranch_execnz .LBB10_98
.LBB10_79:
	s_or_b32 exec_lo, exec_lo, s0
	v_cmp_gt_i32_e32 vcc_lo, s57, v21
	s_and_b32 exec_lo, exec_lo, vcc_lo
	s_cbranch_execz .LBB10_81
.LBB10_80:
	scratch_load_b32 v2, off, off offset:148
	v_add_co_u32 v0, vcc_lo, v0, v19
	v_add_co_ci_u32_e32 v1, vcc_lo, 0, v1, vcc_lo
	s_waitcnt vmcnt(0)
	v_mul_f32_e32 v2, s59, v2
	global_store_b32 v[0:1], v2, off offset:2176
.LBB10_81:
	s_endpgm
.LBB10_82:
	scratch_load_b32 v4, off, off offset:80
	v_add_co_u32 v2, vcc_lo, v0, v19
	v_add_co_ci_u32_e32 v3, vcc_lo, 0, v1, vcc_lo
	s_waitcnt vmcnt(0)
	v_mul_f32_e32 v4, s59, v4
	global_store_b32 v[2:3], v4, off
	s_or_b32 exec_lo, exec_lo, s0
	s_delay_alu instid0(SALU_CYCLE_1)
	s_mov_b32 s0, exec_lo
	v_cmpx_gt_i32_e64 s57, v37
	s_cbranch_execz .LBB10_64
.LBB10_83:
	scratch_load_b32 v4, off, off offset:84
	v_add_co_u32 v2, vcc_lo, v0, v19
	v_add_co_ci_u32_e32 v3, vcc_lo, 0, v1, vcc_lo
	s_waitcnt vmcnt(0)
	v_mul_f32_e32 v4, s59, v4
	global_store_b32 v[2:3], v4, off offset:128
	s_or_b32 exec_lo, exec_lo, s0
	s_delay_alu instid0(SALU_CYCLE_1)
	s_mov_b32 s0, exec_lo
	v_cmpx_gt_i32_e64 s57, v36
	s_cbranch_execz .LBB10_65
.LBB10_84:
	scratch_load_b32 v4, off, off offset:88
	v_add_co_u32 v2, vcc_lo, v0, v19
	v_add_co_ci_u32_e32 v3, vcc_lo, 0, v1, vcc_lo
	s_waitcnt vmcnt(0)
	v_mul_f32_e32 v4, s59, v4
	global_store_b32 v[2:3], v4, off offset:256
	s_or_b32 exec_lo, exec_lo, s0
	s_delay_alu instid0(SALU_CYCLE_1)
	s_mov_b32 s0, exec_lo
	v_cmpx_gt_i32_e64 s57, v35
	s_cbranch_execz .LBB10_66
.LBB10_85:
	scratch_load_b32 v4, off, off offset:92
	v_add_co_u32 v2, vcc_lo, v0, v19
	v_add_co_ci_u32_e32 v3, vcc_lo, 0, v1, vcc_lo
	s_waitcnt vmcnt(0)
	v_mul_f32_e32 v4, s59, v4
	global_store_b32 v[2:3], v4, off offset:384
	s_or_b32 exec_lo, exec_lo, s0
	s_delay_alu instid0(SALU_CYCLE_1)
	s_mov_b32 s0, exec_lo
	v_cmpx_gt_i32_e64 s57, v34
	s_cbranch_execz .LBB10_67
.LBB10_86:
	scratch_load_b32 v4, off, off offset:96
	v_add_co_u32 v2, vcc_lo, v0, v19
	v_add_co_ci_u32_e32 v3, vcc_lo, 0, v1, vcc_lo
	s_waitcnt vmcnt(0)
	v_mul_f32_e32 v4, s59, v4
	global_store_b32 v[2:3], v4, off offset:512
	s_or_b32 exec_lo, exec_lo, s0
	s_delay_alu instid0(SALU_CYCLE_1)
	s_mov_b32 s0, exec_lo
	v_cmpx_gt_i32_e64 s57, v33
	s_cbranch_execz .LBB10_68
.LBB10_87:
	scratch_load_b32 v4, off, off offset:100
	v_add_co_u32 v2, vcc_lo, v0, v19
	v_add_co_ci_u32_e32 v3, vcc_lo, 0, v1, vcc_lo
	s_waitcnt vmcnt(0)
	v_mul_f32_e32 v4, s59, v4
	global_store_b32 v[2:3], v4, off offset:640
	s_or_b32 exec_lo, exec_lo, s0
	s_delay_alu instid0(SALU_CYCLE_1)
	s_mov_b32 s0, exec_lo
	v_cmpx_gt_i32_e64 s57, v32
	s_cbranch_execz .LBB10_69
.LBB10_88:
	scratch_load_b32 v4, off, off offset:104
	v_add_co_u32 v2, vcc_lo, v0, v19
	v_add_co_ci_u32_e32 v3, vcc_lo, 0, v1, vcc_lo
	s_waitcnt vmcnt(0)
	v_mul_f32_e32 v4, s59, v4
	global_store_b32 v[2:3], v4, off offset:768
	s_or_b32 exec_lo, exec_lo, s0
	s_delay_alu instid0(SALU_CYCLE_1)
	s_mov_b32 s0, exec_lo
	v_cmpx_gt_i32_e64 s57, v31
	s_cbranch_execz .LBB10_70
.LBB10_89:
	scratch_load_b32 v4, off, off offset:108
	v_add_co_u32 v2, vcc_lo, v0, v19
	v_add_co_ci_u32_e32 v3, vcc_lo, 0, v1, vcc_lo
	s_waitcnt vmcnt(0)
	v_mul_f32_e32 v4, s59, v4
	global_store_b32 v[2:3], v4, off offset:896
	s_or_b32 exec_lo, exec_lo, s0
	s_delay_alu instid0(SALU_CYCLE_1)
	s_mov_b32 s0, exec_lo
	v_cmpx_gt_i32_e64 s57, v30
	s_cbranch_execz .LBB10_71
.LBB10_90:
	scratch_load_b32 v4, off, off offset:112
	v_add_co_u32 v2, vcc_lo, v0, v19
	v_add_co_ci_u32_e32 v3, vcc_lo, 0, v1, vcc_lo
	s_waitcnt vmcnt(0)
	v_mul_f32_e32 v4, s59, v4
	global_store_b32 v[2:3], v4, off offset:1024
	s_or_b32 exec_lo, exec_lo, s0
	s_delay_alu instid0(SALU_CYCLE_1)
	s_mov_b32 s0, exec_lo
	v_cmpx_gt_i32_e64 s57, v29
	s_cbranch_execz .LBB10_72
.LBB10_91:
	scratch_load_b32 v4, off, off offset:116
	v_add_co_u32 v2, vcc_lo, v0, v19
	v_add_co_ci_u32_e32 v3, vcc_lo, 0, v1, vcc_lo
	s_waitcnt vmcnt(0)
	v_mul_f32_e32 v4, s59, v4
	global_store_b32 v[2:3], v4, off offset:1152
	s_or_b32 exec_lo, exec_lo, s0
	s_delay_alu instid0(SALU_CYCLE_1)
	s_mov_b32 s0, exec_lo
	v_cmpx_gt_i32_e64 s57, v28
	s_cbranch_execz .LBB10_73
.LBB10_92:
	scratch_load_b32 v4, off, off offset:120
	v_add_co_u32 v2, vcc_lo, v0, v19
	v_add_co_ci_u32_e32 v3, vcc_lo, 0, v1, vcc_lo
	s_waitcnt vmcnt(0)
	v_mul_f32_e32 v4, s59, v4
	global_store_b32 v[2:3], v4, off offset:1280
	s_or_b32 exec_lo, exec_lo, s0
	s_delay_alu instid0(SALU_CYCLE_1)
	s_mov_b32 s0, exec_lo
	v_cmpx_gt_i32_e64 s57, v27
	s_cbranch_execz .LBB10_74
.LBB10_93:
	scratch_load_b32 v4, off, off offset:124
	v_add_co_u32 v2, vcc_lo, v0, v19
	v_add_co_ci_u32_e32 v3, vcc_lo, 0, v1, vcc_lo
	s_waitcnt vmcnt(0)
	v_mul_f32_e32 v4, s59, v4
	global_store_b32 v[2:3], v4, off offset:1408
	s_or_b32 exec_lo, exec_lo, s0
	s_delay_alu instid0(SALU_CYCLE_1)
	s_mov_b32 s0, exec_lo
	v_cmpx_gt_i32_e64 s57, v26
	s_cbranch_execz .LBB10_75
.LBB10_94:
	scratch_load_b32 v4, off, off offset:128
	v_add_co_u32 v2, vcc_lo, v0, v19
	v_add_co_ci_u32_e32 v3, vcc_lo, 0, v1, vcc_lo
	s_waitcnt vmcnt(0)
	v_mul_f32_e32 v4, s59, v4
	global_store_b32 v[2:3], v4, off offset:1536
	s_or_b32 exec_lo, exec_lo, s0
	s_delay_alu instid0(SALU_CYCLE_1)
	s_mov_b32 s0, exec_lo
	v_cmpx_gt_i32_e64 s57, v25
	s_cbranch_execz .LBB10_76
.LBB10_95:
	scratch_load_b32 v4, off, off offset:132
	v_add_co_u32 v2, vcc_lo, v0, v19
	v_add_co_ci_u32_e32 v3, vcc_lo, 0, v1, vcc_lo
	s_waitcnt vmcnt(0)
	v_mul_f32_e32 v4, s59, v4
	global_store_b32 v[2:3], v4, off offset:1664
	s_or_b32 exec_lo, exec_lo, s0
	s_delay_alu instid0(SALU_CYCLE_1)
	s_mov_b32 s0, exec_lo
	v_cmpx_gt_i32_e64 s57, v24
	s_cbranch_execz .LBB10_77
.LBB10_96:
	scratch_load_b32 v4, off, off offset:136
	v_add_co_u32 v2, vcc_lo, v0, v19
	v_add_co_ci_u32_e32 v3, vcc_lo, 0, v1, vcc_lo
	s_waitcnt vmcnt(0)
	v_mul_f32_e32 v4, s59, v4
	global_store_b32 v[2:3], v4, off offset:1792
	s_or_b32 exec_lo, exec_lo, s0
	s_delay_alu instid0(SALU_CYCLE_1)
	s_mov_b32 s0, exec_lo
	v_cmpx_gt_i32_e64 s57, v23
	s_cbranch_execz .LBB10_78
.LBB10_97:
	scratch_load_b32 v4, off, off offset:140
	v_add_co_u32 v2, vcc_lo, v0, v19
	v_add_co_ci_u32_e32 v3, vcc_lo, 0, v1, vcc_lo
	s_waitcnt vmcnt(0)
	v_mul_f32_e32 v4, s59, v4
	global_store_b32 v[2:3], v4, off offset:1920
	s_or_b32 exec_lo, exec_lo, s0
	s_delay_alu instid0(SALU_CYCLE_1)
	s_mov_b32 s0, exec_lo
	v_cmpx_gt_i32_e64 s57, v22
	s_cbranch_execz .LBB10_79
.LBB10_98:
	scratch_load_b32 v4, off, off offset:144
	v_add_co_u32 v2, vcc_lo, v0, v19
	v_add_co_ci_u32_e32 v3, vcc_lo, 0, v1, vcc_lo
	s_waitcnt vmcnt(0)
	v_mul_f32_e32 v4, s59, v4
	global_store_b32 v[2:3], v4, off offset:2048
	s_or_b32 exec_lo, exec_lo, s0
	v_cmp_gt_i32_e32 vcc_lo, s57, v21
	s_and_b32 exec_lo, exec_lo, vcc_lo
	s_cbranch_execnz .LBB10_80
	s_branch .LBB10_81
.LBB10_99:
	s_delay_alu instid0(VALU_DEP_1)
	v_mul_f32_e32 v0, v38, v39
	scratch_store_b32 off, v0, off offset:80
	s_or_b32 exec_lo, exec_lo, s18
	s_and_saveexec_b32 s17, s16
	s_cbranch_execz .LBB10_44
.LBB10_100:
	v_mul_f32_e32 v0, v1, v39
	scratch_store_b32 off, v0, off offset:84
	s_or_b32 exec_lo, exec_lo, s17
	s_and_saveexec_b32 s16, s15
	s_cbranch_execz .LBB10_45
.LBB10_101:
	v_mul_f32_e32 v0, v2, v39
	scratch_store_b32 off, v0, off offset:88
	s_or_b32 exec_lo, exec_lo, s16
	s_and_saveexec_b32 s15, s14
	s_cbranch_execz .LBB10_46
.LBB10_102:
	v_mul_f32_e32 v0, v3, v39
	scratch_store_b32 off, v0, off offset:92
	s_or_b32 exec_lo, exec_lo, s15
	s_and_saveexec_b32 s14, s13
	s_cbranch_execz .LBB10_47
.LBB10_103:
	v_mul_f32_e32 v0, v12, v39
	scratch_store_b32 off, v0, off offset:96
	s_or_b32 exec_lo, exec_lo, s14
	s_and_saveexec_b32 s13, s12
	s_cbranch_execz .LBB10_48
.LBB10_104:
	v_mul_f32_e32 v0, v13, v39
	scratch_store_b32 off, v0, off offset:100
	s_or_b32 exec_lo, exec_lo, s13
	s_and_saveexec_b32 s12, s11
	s_cbranch_execz .LBB10_49
.LBB10_105:
	v_mul_f32_e32 v0, v14, v39
	scratch_store_b32 off, v0, off offset:104
	s_or_b32 exec_lo, exec_lo, s12
	s_and_saveexec_b32 s11, s10
	s_cbranch_execz .LBB10_50
.LBB10_106:
	v_mul_f32_e32 v0, v15, v39
	scratch_store_b32 off, v0, off offset:108
	s_or_b32 exec_lo, exec_lo, s11
	s_and_saveexec_b32 s10, s9
	s_cbranch_execz .LBB10_51
.LBB10_107:
	v_mul_f32_e32 v0, v8, v39
	scratch_store_b32 off, v0, off offset:112
	s_or_b32 exec_lo, exec_lo, s10
	s_and_saveexec_b32 s9, s8
	s_cbranch_execz .LBB10_52
.LBB10_108:
	v_mul_f32_e32 v0, v9, v39
	scratch_store_b32 off, v0, off offset:116
	s_or_b32 exec_lo, exec_lo, s9
	s_and_saveexec_b32 s8, s7
	s_cbranch_execz .LBB10_53
.LBB10_109:
	v_mul_f32_e32 v0, v10, v39
	scratch_store_b32 off, v0, off offset:120
	s_or_b32 exec_lo, exec_lo, s8
	s_and_saveexec_b32 s7, s6
	s_cbranch_execz .LBB10_54
.LBB10_110:
	v_mul_f32_e32 v0, v11, v39
	scratch_store_b32 off, v0, off offset:124
	s_or_b32 exec_lo, exec_lo, s7
	s_and_saveexec_b32 s6, s5
	s_cbranch_execz .LBB10_55
.LBB10_111:
	v_mul_f32_e32 v0, v4, v39
	scratch_store_b32 off, v0, off offset:128
	s_or_b32 exec_lo, exec_lo, s6
	s_and_saveexec_b32 s5, s4
	s_cbranch_execz .LBB10_56
.LBB10_112:
	v_mul_f32_e32 v0, v5, v39
	scratch_store_b32 off, v0, off offset:132
	s_or_b32 exec_lo, exec_lo, s5
	s_and_saveexec_b32 s4, s3
	s_cbranch_execz .LBB10_57
.LBB10_113:
	v_mul_f32_e32 v0, v6, v39
	scratch_store_b32 off, v0, off offset:136
	s_or_b32 exec_lo, exec_lo, s4
	s_and_saveexec_b32 s3, s2
	s_cbranch_execz .LBB10_58
.LBB10_114:
	v_mul_f32_e32 v0, v7, v39
	scratch_store_b32 off, v0, off offset:140
	s_or_b32 exec_lo, exec_lo, s3
	s_and_saveexec_b32 s2, s1
	s_cbranch_execz .LBB10_59
.LBB10_115:
	v_mul_f32_e32 v0, v17, v39
	scratch_store_b32 off, v0, off offset:144
	s_or_b32 exec_lo, exec_lo, s2
	s_and_saveexec_b32 s1, s0
	s_cbranch_execnz .LBB10_60
	s_branch .LBB10_61
	.section	.rodata,"a",@progbits
	.p2align	6, 0x0
	.amdhsa_kernel _Z13topk_moe_cudaILi576ELb1EEvPKfPfPiS2_iiff15topk_moe_config
		.amdhsa_group_segment_fixed_size 0
		.amdhsa_private_segment_fixed_size 160
		.amdhsa_kernarg_size 312
		.amdhsa_user_sgpr_count 15
		.amdhsa_user_sgpr_dispatch_ptr 0
		.amdhsa_user_sgpr_queue_ptr 0
		.amdhsa_user_sgpr_kernarg_segment_ptr 1
		.amdhsa_user_sgpr_dispatch_id 0
		.amdhsa_user_sgpr_private_segment_size 0
		.amdhsa_wavefront_size32 1
		.amdhsa_uses_dynamic_stack 0
		.amdhsa_enable_private_segment 1
		.amdhsa_system_sgpr_workgroup_id_x 1
		.amdhsa_system_sgpr_workgroup_id_y 0
		.amdhsa_system_sgpr_workgroup_id_z 0
		.amdhsa_system_sgpr_workgroup_info 0
		.amdhsa_system_vgpr_workitem_id 1
		.amdhsa_next_free_vgpr 99
		.amdhsa_next_free_sgpr 60
		.amdhsa_reserve_vcc 1
		.amdhsa_float_round_mode_32 0
		.amdhsa_float_round_mode_16_64 0
		.amdhsa_float_denorm_mode_32 3
		.amdhsa_float_denorm_mode_16_64 3
		.amdhsa_dx10_clamp 1
		.amdhsa_ieee_mode 1
		.amdhsa_fp16_overflow 0
		.amdhsa_workgroup_processor_mode 1
		.amdhsa_memory_ordered 1
		.amdhsa_forward_progress 0
		.amdhsa_shared_vgpr_count 0
		.amdhsa_exception_fp_ieee_invalid_op 0
		.amdhsa_exception_fp_denorm_src 0
		.amdhsa_exception_fp_ieee_div_zero 0
		.amdhsa_exception_fp_ieee_overflow 0
		.amdhsa_exception_fp_ieee_underflow 0
		.amdhsa_exception_fp_ieee_inexact 0
		.amdhsa_exception_int_div_zero 0
	.end_amdhsa_kernel
	.section	.text._Z13topk_moe_cudaILi576ELb1EEvPKfPfPiS2_iiff15topk_moe_config,"axG",@progbits,_Z13topk_moe_cudaILi576ELb1EEvPKfPfPiS2_iiff15topk_moe_config,comdat
.Lfunc_end10:
	.size	_Z13topk_moe_cudaILi576ELb1EEvPKfPfPiS2_iiff15topk_moe_config, .Lfunc_end10-_Z13topk_moe_cudaILi576ELb1EEvPKfPfPiS2_iiff15topk_moe_config
                                        ; -- End function
	.section	.AMDGPU.csdata,"",@progbits
; Kernel info:
; codeLenInByte = 14704
; NumSgprs: 62
; NumVgprs: 99
; ScratchSize: 160
; MemoryBound: 0
; FloatMode: 240
; IeeeMode: 1
; LDSByteSize: 0 bytes/workgroup (compile time only)
; SGPRBlocks: 7
; VGPRBlocks: 12
; NumSGPRsForWavesPerEU: 62
; NumVGPRsForWavesPerEU: 99
; Occupancy: 12
; WaveLimiterHint : 1
; COMPUTE_PGM_RSRC2:SCRATCH_EN: 1
; COMPUTE_PGM_RSRC2:USER_SGPR: 15
; COMPUTE_PGM_RSRC2:TRAP_HANDLER: 0
; COMPUTE_PGM_RSRC2:TGID_X_EN: 1
; COMPUTE_PGM_RSRC2:TGID_Y_EN: 0
; COMPUTE_PGM_RSRC2:TGID_Z_EN: 0
; COMPUTE_PGM_RSRC2:TIDIG_COMP_CNT: 1
	.section	.text._Z13topk_moe_cudaILi1ELb0EEvPKfPfPiS2_iiff15topk_moe_config,"axG",@progbits,_Z13topk_moe_cudaILi1ELb0EEvPKfPfPiS2_iiff15topk_moe_config,comdat
	.protected	_Z13topk_moe_cudaILi1ELb0EEvPKfPfPiS2_iiff15topk_moe_config ; -- Begin function _Z13topk_moe_cudaILi1ELb0EEvPKfPfPiS2_iiff15topk_moe_config
	.globl	_Z13topk_moe_cudaILi1ELb0EEvPKfPfPiS2_iiff15topk_moe_config
	.p2align	8
	.type	_Z13topk_moe_cudaILi1ELb0EEvPKfPfPiS2_iiff15topk_moe_config,@function
_Z13topk_moe_cudaILi1ELb0EEvPKfPfPiS2_iiff15topk_moe_config: ; @_Z13topk_moe_cudaILi1ELb0EEvPKfPfPiS2_iiff15topk_moe_config
; %bb.0:
	s_clause 0x1
	s_load_b32 s2, s[0:1], 0x44
	s_load_b128 s[4:7], s[0:1], 0x20
	v_bfe_u32 v3, v0, 10, 10
	s_waitcnt lgkmcnt(0)
	s_lshr_b32 s2, s2, 16
	s_delay_alu instid0(VALU_DEP_1) | instid1(SALU_CYCLE_1)
	v_mad_u64_u32 v[1:2], null, s15, s2, v[3:4]
	s_mov_b32 s2, exec_lo
	s_delay_alu instid0(VALU_DEP_1)
	v_cmpx_gt_i32_e64 s4, v1
	s_cbranch_execz .LBB11_41
; %bb.1:
	v_mov_b32_e32 v2, 0
	v_and_b32_e32 v0, 0x3ff, v0
	v_mov_b32_e32 v7, 0xff800000
	s_clause 0x1
	global_load_u16 v3, v2, s[0:1] offset:48
	global_load_u8 v4, v2, s[0:1] offset:50
	s_clause 0x1
	s_load_b128 s[8:11], s[0:1], 0x0
	s_load_b64 s[0:1], s[0:1], 0x10
	s_waitcnt vmcnt(1)
	v_lshrrev_b32_e32 v2, 8, v3
	v_and_b32_e32 v3, 0xff, v3
	s_waitcnt vmcnt(0)
	v_readfirstlane_b32 s3, v4
	s_delay_alu instid0(VALU_DEP_3) | instskip(NEXT) | instid1(VALU_DEP_2)
	v_lshlrev_b16 v2, 8, v2
	s_lshl_b32 s3, s3, 16
	s_delay_alu instid0(VALU_DEP_1) | instskip(SKIP_1) | instid1(VALU_DEP_2)
	v_or_b32_e32 v3, v3, v2
	v_ashrrev_i32_e32 v2, 31, v1
	v_readfirstlane_b32 s2, v3
	s_delay_alu instid0(VALU_DEP_2) | instskip(NEXT) | instid1(VALU_DEP_2)
	v_lshlrev_b64 v[2:3], 2, v[1:2]
	s_and_b32 s2, 0xffff, s2
	s_delay_alu instid0(SALU_CYCLE_1)
	s_or_b32 s3, s2, s3
	s_mov_b32 s2, exec_lo
	v_cmpx_eq_u32_e32 0, v0
	s_cbranch_execz .LBB11_3
; %bb.2:
	s_waitcnt lgkmcnt(0)
	v_add_co_u32 v4, vcc_lo, s8, v2
	v_add_co_ci_u32_e32 v5, vcc_lo, s9, v3, vcc_lo
	global_load_b32 v7, v[4:5], off
.LBB11_3:
	s_or_b32 exec_lo, exec_lo, s2
	s_bitcmp1_b32 s3, 16
	s_cselect_b32 s2, -1, 0
	s_delay_alu instid0(SALU_CYCLE_1)
	s_and_b32 vcc_lo, exec_lo, s2
	s_cbranch_vccnz .LBB11_9
; %bb.4:
	s_bitcmp0_b32 s3, 0
	s_mov_b32 s4, 0
	s_cbranch_scc0 .LBB11_6
; %bb.5:
	v_mbcnt_lo_u32_b32 v4, -1, 0
	s_delay_alu instid0(VALU_DEP_1)
	v_xor_b32_e32 v5, 16, v4
	v_xor_b32_e32 v9, 8, v4
	;; [unrolled: 1-line block ×5, first 2 shown]
	v_cmp_gt_i32_e32 vcc_lo, 32, v5
	s_waitcnt vmcnt(0)
	v_dual_max_f32 v6, v7, v7 :: v_dual_cndmask_b32 v5, v4, v5
	s_delay_alu instid0(VALU_DEP_1) | instskip(SKIP_1) | instid1(VALU_DEP_3)
	v_max_f32_e32 v6, 0xff800000, v6
	v_cmp_gt_i32_e32 vcc_lo, 32, v9
	v_lshlrev_b32_e32 v5, 2, v5
	ds_bpermute_b32 v8, v5, v6
	s_waitcnt lgkmcnt(0)
	v_max_f32_e32 v8, v8, v8
	v_cndmask_b32_e32 v9, v4, v9, vcc_lo
	v_cmp_gt_i32_e32 vcc_lo, 32, v10
	s_delay_alu instid0(VALU_DEP_2)
	v_dual_max_f32 v6, v6, v8 :: v_dual_lshlrev_b32 v9, 2, v9
	v_cndmask_b32_e32 v10, v4, v10, vcc_lo
	v_cmp_gt_i32_e32 vcc_lo, 32, v11
	ds_bpermute_b32 v8, v9, v6
	v_cndmask_b32_e32 v11, v4, v11, vcc_lo
	v_cmp_gt_i32_e32 vcc_lo, 32, v12
	s_delay_alu instid0(VALU_DEP_2) | instskip(SKIP_2) | instid1(VALU_DEP_1)
	v_lshlrev_b32_e32 v11, 2, v11
	v_lshlrev_b32_e32 v10, 2, v10
	v_cndmask_b32_e32 v4, v4, v12, vcc_lo
	v_lshlrev_b32_e32 v4, 2, v4
	s_waitcnt lgkmcnt(0)
	v_max_f32_e32 v8, v8, v8
	s_delay_alu instid0(VALU_DEP_1) | instskip(SKIP_3) | instid1(VALU_DEP_1)
	v_max_f32_e32 v6, v6, v8
	ds_bpermute_b32 v8, v10, v6
	s_waitcnt lgkmcnt(0)
	v_max_f32_e32 v8, v8, v8
	v_max_f32_e32 v6, v6, v8
	ds_bpermute_b32 v8, v11, v6
	s_waitcnt lgkmcnt(0)
	v_max_f32_e32 v8, v8, v8
	s_delay_alu instid0(VALU_DEP_1) | instskip(SKIP_3) | instid1(VALU_DEP_1)
	v_max_f32_e32 v6, v6, v8
	ds_bpermute_b32 v8, v4, v6
	s_waitcnt lgkmcnt(0)
	v_max_f32_e32 v8, v8, v8
	v_max_f32_e32 v6, v6, v8
	s_delay_alu instid0(VALU_DEP_1) | instskip(NEXT) | instid1(VALU_DEP_1)
	v_sub_f32_e32 v6, v7, v6
	v_mul_f32_e32 v8, 0x3fb8aa3b, v6
	v_cmp_ngt_f32_e32 vcc_lo, 0xc2ce8ed0, v6
	s_delay_alu instid0(VALU_DEP_2) | instskip(SKIP_1) | instid1(VALU_DEP_2)
	v_fma_f32 v12, 0x3fb8aa3b, v6, -v8
	v_rndne_f32_e32 v13, v8
	v_fmamk_f32 v12, v6, 0x32a5705f, v12
	s_delay_alu instid0(VALU_DEP_2) | instskip(NEXT) | instid1(VALU_DEP_1)
	v_sub_f32_e32 v8, v8, v13
	v_add_f32_e32 v8, v8, v12
	v_cvt_i32_f32_e32 v12, v13
	s_delay_alu instid0(VALU_DEP_2) | instskip(SKIP_2) | instid1(VALU_DEP_1)
	v_exp_f32_e32 v8, v8
	s_waitcnt_depctr 0xfff
	v_ldexp_f32 v8, v8, v12
	v_cndmask_b32_e32 v8, 0, v8, vcc_lo
	v_cmp_nlt_f32_e32 vcc_lo, 0x42b17218, v6
	s_delay_alu instid0(VALU_DEP_2)
	v_cndmask_b32_e32 v6, 0x7f800000, v8, vcc_lo
	ds_bpermute_b32 v5, v5, v6
	s_waitcnt lgkmcnt(0)
	v_add_f32_e32 v5, v6, v5
	ds_bpermute_b32 v8, v9, v5
	s_waitcnt lgkmcnt(0)
	v_add_f32_e32 v5, v5, v8
	;; [unrolled: 3-line block ×5, first 2 shown]
	s_delay_alu instid0(VALU_DEP_1) | instskip(NEXT) | instid1(VALU_DEP_1)
	v_div_scale_f32 v5, null, v4, v4, 1.0
	v_rcp_f32_e32 v8, v5
	s_waitcnt_depctr 0xfff
	v_fma_f32 v9, -v5, v8, 1.0
	s_delay_alu instid0(VALU_DEP_1) | instskip(SKIP_1) | instid1(VALU_DEP_1)
	v_fmac_f32_e32 v8, v9, v8
	v_div_scale_f32 v9, vcc_lo, 1.0, v4, 1.0
	v_mul_f32_e32 v10, v9, v8
	s_delay_alu instid0(VALU_DEP_1) | instskip(NEXT) | instid1(VALU_DEP_1)
	v_fma_f32 v11, -v5, v10, v9
	v_fmac_f32_e32 v10, v11, v8
	s_delay_alu instid0(VALU_DEP_1) | instskip(NEXT) | instid1(VALU_DEP_1)
	v_fma_f32 v5, -v5, v10, v9
	v_div_fmas_f32 v5, v5, v8, v10
	s_delay_alu instid0(VALU_DEP_1) | instskip(NEXT) | instid1(VALU_DEP_1)
	v_div_fixup_f32 v4, v5, v4, 1.0
	v_mul_f32_e32 v4, v6, v4
	s_and_not1_b32 vcc_lo, exec_lo, s4
	s_cbranch_vccz .LBB11_7
	s_branch .LBB11_8
.LBB11_6:
                                        ; implicit-def: $vgpr4
.LBB11_7:
	s_waitcnt vmcnt(0)
	v_mul_f32_e32 v4, 0xbfb8aa3b, v7
	v_cmp_nlt_f32_e32 vcc_lo, 0x42ce8ed0, v7
	s_delay_alu instid0(VALU_DEP_2) | instskip(SKIP_1) | instid1(VALU_DEP_2)
	v_rndne_f32_e32 v5, v4
	v_fma_f32 v6, 0xbfb8aa3b, v7, -v4
	v_sub_f32_e32 v4, v4, v5
	s_delay_alu instid0(VALU_DEP_2) | instskip(SKIP_1) | instid1(VALU_DEP_2)
	v_fmamk_f32 v6, v7, 0xb2a5705f, v6
	v_cvt_i32_f32_e32 v5, v5
	v_add_f32_e32 v4, v4, v6
	s_delay_alu instid0(VALU_DEP_1) | instskip(SKIP_2) | instid1(VALU_DEP_1)
	v_exp_f32_e32 v4, v4
	s_waitcnt_depctr 0xfff
	v_ldexp_f32 v4, v4, v5
	v_cndmask_b32_e32 v4, 0, v4, vcc_lo
	v_cmp_ngt_f32_e32 vcc_lo, 0xc2b17218, v7
	s_delay_alu instid0(VALU_DEP_2) | instskip(NEXT) | instid1(VALU_DEP_1)
	v_cndmask_b32_e32 v4, 0x7f800000, v4, vcc_lo
	v_add_f32_e32 v4, 1.0, v4
	s_delay_alu instid0(VALU_DEP_1) | instskip(NEXT) | instid1(VALU_DEP_1)
	v_div_scale_f32 v5, null, v4, v4, 1.0
	v_rcp_f32_e32 v6, v5
	s_waitcnt_depctr 0xfff
	v_fma_f32 v7, -v5, v6, 1.0
	s_delay_alu instid0(VALU_DEP_1) | instskip(SKIP_1) | instid1(VALU_DEP_1)
	v_fmac_f32_e32 v6, v7, v6
	v_div_scale_f32 v7, vcc_lo, 1.0, v4, 1.0
	v_mul_f32_e32 v8, v7, v6
	s_delay_alu instid0(VALU_DEP_1) | instskip(NEXT) | instid1(VALU_DEP_1)
	v_fma_f32 v9, -v5, v8, v7
	v_fmac_f32_e32 v8, v9, v6
	s_delay_alu instid0(VALU_DEP_1) | instskip(NEXT) | instid1(VALU_DEP_1)
	v_fma_f32 v5, -v5, v8, v7
	v_div_fmas_f32 v5, v5, v6, v8
	s_delay_alu instid0(VALU_DEP_1)
	v_div_fixup_f32 v4, v5, v4, 1.0
.LBB11_8:
	s_waitcnt vmcnt(0)
	s_delay_alu instid0(VALU_DEP_1)
	v_mov_b32_e32 v7, v4
.LBB11_9:
	s_lshr_b32 s4, s3, 8
	s_cmp_gt_i32 s5, 0
	s_waitcnt lgkmcnt(0)
	s_mov_b32 s8, 0
	s_cbranch_scc1 .LBB11_11
; %bb.10:
	s_bitcmp1_b32 s4, 0
	s_mov_b32 s9, 0
	s_cselect_b32 s3, -1, 0
	s_branch .LBB11_12
.LBB11_11:
	s_mov_b32 s8, -1
                                        ; implicit-def: $sgpr9
                                        ; implicit-def: $sgpr3
.LBB11_12:
	v_dual_mov_b32 v6, s9 :: v_dual_mov_b32 v5, s9
	v_mbcnt_lo_u32_b32 v4, -1, 0
	s_and_not1_b32 vcc_lo, exec_lo, s8
	s_cbranch_vccnz .LBB11_37
; %bb.13:
	v_add_co_u32 v2, vcc_lo, s0, v2
	v_add_co_ci_u32_e32 v3, vcc_lo, s1, v3, vcc_lo
	v_xor_b32_e32 v5, 16, v4
	s_waitcnt vmcnt(0)
	v_cmp_o_f32_e32 vcc_lo, v7, v7
	v_xor_b32_e32 v6, 8, v4
	v_xor_b32_e32 v8, 4, v4
	;; [unrolled: 1-line block ×4, first 2 shown]
	v_cndmask_b32_e32 v7, 0xff7fffff, v7, vcc_lo
	v_cmp_gt_i32_e32 vcc_lo, 32, v5
	s_bitcmp1_b32 s4, 0
	s_mov_b32 s1, 0
	s_cselect_b32 s3, -1, 0
	v_cndmask_b32_e32 v5, v4, v5, vcc_lo
	v_cmp_gt_i32_e32 vcc_lo, 32, v6
	v_cndmask_b32_e32 v6, v4, v6, vcc_lo
	v_cmp_gt_i32_e32 vcc_lo, 32, v8
	;; [unrolled: 2-line block ×4, first 2 shown]
	s_delay_alu instid0(VALU_DEP_4) | instskip(SKIP_1) | instid1(VALU_DEP_4)
	v_dual_cndmask_b32 v13, v4, v10 :: v_dual_lshlrev_b32 v10, 2, v11
	v_lshlrev_b32_e32 v8, 2, v5
	v_lshlrev_b32_e32 v11, 2, v12
	v_dual_mov_b32 v6, 0 :: v_dual_lshlrev_b32 v9, 2, v6
	s_delay_alu instid0(VALU_DEP_4)
	v_dual_mov_b32 v5, 0 :: v_dual_lshlrev_b32 v12, 2, v13
	s_branch .LBB11_15
.LBB11_14:                              ;   in Loop: Header=BB11_15 Depth=1
	s_or_b32 exec_lo, exec_lo, s0
	s_and_b32 s0, s1, 31
	v_cndmask_b32_e64 v7, v7, 0xff800000, vcc_lo
	v_cmp_eq_u32_e32 vcc_lo, s0, v0
	s_add_i32 s1, s1, 1
	s_delay_alu instid0(SALU_CYCLE_1)
	s_cmp_eq_u32 s5, s1
	v_cndmask_b32_e32 v5, v5, v13, vcc_lo
	v_add_co_u32 v2, vcc_lo, v2, 4
	v_add_co_ci_u32_e32 v3, vcc_lo, 0, v3, vcc_lo
	s_cbranch_scc1 .LBB11_37
.LBB11_15:                              ; =>This Inner Loop Header: Depth=1
	s_waitcnt lgkmcnt(0)
	ds_bpermute_b32 v16, v8, v7
	ds_bpermute_b32 v17, v8, v0
	s_mov_b32 s8, exec_lo
                                        ; implicit-def: $vgpr15
	s_waitcnt lgkmcnt(1)
	v_cmp_lt_f32_e64 s4, v7, v16
	v_cmpx_nlt_f32_e32 v7, v16
	s_cbranch_execz .LBB11_17
; %bb.16:                               ;   in Loop: Header=BB11_15 Depth=1
	v_cmp_eq_f32_e32 vcc_lo, v7, v16
	s_waitcnt lgkmcnt(0)
	v_cmp_lt_i32_e64 s0, v17, v0
	v_mov_b32_e32 v15, v7
	s_and_not1_b32 s4, s4, exec_lo
	s_delay_alu instid0(VALU_DEP_2) | instskip(NEXT) | instid1(SALU_CYCLE_1)
	s_and_b32 s0, vcc_lo, s0
	s_and_b32 s0, s0, exec_lo
	s_delay_alu instid0(SALU_CYCLE_1)
	s_or_b32 s4, s4, s0
.LBB11_17:                              ;   in Loop: Header=BB11_15 Depth=1
	s_or_b32 exec_lo, exec_lo, s8
	v_dual_mov_b32 v13, v7 :: v_dual_mov_b32 v14, v0
	s_and_saveexec_b32 s0, s4
	s_cbranch_execz .LBB11_19
; %bb.18:                               ;   in Loop: Header=BB11_15 Depth=1
	s_waitcnt lgkmcnt(0)
	v_dual_mov_b32 v15, v16 :: v_dual_mov_b32 v14, v17
	v_mov_b32_e32 v13, v16
.LBB11_19:                              ;   in Loop: Header=BB11_15 Depth=1
	s_or_b32 exec_lo, exec_lo, s0
	ds_bpermute_b32 v16, v9, v15
	s_waitcnt lgkmcnt(1)
	ds_bpermute_b32 v17, v9, v14
	s_mov_b32 s8, exec_lo
	s_waitcnt lgkmcnt(1)
	v_cmp_lt_f32_e64 s4, v13, v16
	v_cmpx_nlt_f32_e32 v13, v16
	s_cbranch_execz .LBB11_21
; %bb.20:                               ;   in Loop: Header=BB11_15 Depth=1
	v_cmp_eq_f32_e32 vcc_lo, v13, v16
	s_waitcnt lgkmcnt(0)
	v_cmp_lt_i32_e64 s0, v17, v14
	s_and_not1_b32 s4, s4, exec_lo
	s_delay_alu instid0(VALU_DEP_1) | instskip(NEXT) | instid1(SALU_CYCLE_1)
	s_and_b32 s0, vcc_lo, s0
	s_and_b32 s0, s0, exec_lo
	s_delay_alu instid0(SALU_CYCLE_1)
	s_or_b32 s4, s4, s0
.LBB11_21:                              ;   in Loop: Header=BB11_15 Depth=1
	s_or_b32 exec_lo, exec_lo, s8
	s_delay_alu instid0(VALU_DEP_2)
	s_and_saveexec_b32 s0, s4
	s_cbranch_execz .LBB11_23
; %bb.22:                               ;   in Loop: Header=BB11_15 Depth=1
	s_waitcnt lgkmcnt(0)
	v_dual_mov_b32 v15, v16 :: v_dual_mov_b32 v14, v17
	v_mov_b32_e32 v13, v16
.LBB11_23:                              ;   in Loop: Header=BB11_15 Depth=1
	s_or_b32 exec_lo, exec_lo, s0
	ds_bpermute_b32 v16, v10, v15
	s_waitcnt lgkmcnt(1)
	ds_bpermute_b32 v17, v10, v14
	s_mov_b32 s8, exec_lo
	s_waitcnt lgkmcnt(1)
	v_cmp_lt_f32_e64 s4, v13, v16
	v_cmpx_nlt_f32_e32 v13, v16
	s_cbranch_execz .LBB11_25
; %bb.24:                               ;   in Loop: Header=BB11_15 Depth=1
	v_cmp_eq_f32_e32 vcc_lo, v13, v16
	s_waitcnt lgkmcnt(0)
	v_cmp_lt_i32_e64 s0, v17, v14
	s_and_not1_b32 s4, s4, exec_lo
	s_delay_alu instid0(VALU_DEP_1) | instskip(NEXT) | instid1(SALU_CYCLE_1)
	s_and_b32 s0, vcc_lo, s0
	s_and_b32 s0, s0, exec_lo
	s_delay_alu instid0(SALU_CYCLE_1)
	s_or_b32 s4, s4, s0
.LBB11_25:                              ;   in Loop: Header=BB11_15 Depth=1
	s_or_b32 exec_lo, exec_lo, s8
	s_delay_alu instid0(VALU_DEP_2)
	s_and_saveexec_b32 s0, s4
	s_cbranch_execz .LBB11_27
; %bb.26:                               ;   in Loop: Header=BB11_15 Depth=1
	s_waitcnt lgkmcnt(0)
	v_dual_mov_b32 v15, v16 :: v_dual_mov_b32 v14, v17
	v_mov_b32_e32 v13, v16
.LBB11_27:                              ;   in Loop: Header=BB11_15 Depth=1
	s_or_b32 exec_lo, exec_lo, s0
	ds_bpermute_b32 v16, v11, v15
	s_waitcnt lgkmcnt(1)
	ds_bpermute_b32 v17, v11, v14
	s_mov_b32 s8, exec_lo
	s_waitcnt lgkmcnt(1)
	v_cmp_lt_f32_e64 s4, v13, v16
	v_cmpx_nlt_f32_e32 v13, v16
	s_cbranch_execz .LBB11_29
; %bb.28:                               ;   in Loop: Header=BB11_15 Depth=1
	v_cmp_eq_f32_e32 vcc_lo, v13, v16
	s_waitcnt lgkmcnt(0)
	v_cmp_lt_i32_e64 s0, v17, v14
	s_and_not1_b32 s4, s4, exec_lo
	s_delay_alu instid0(VALU_DEP_1) | instskip(NEXT) | instid1(SALU_CYCLE_1)
	s_and_b32 s0, vcc_lo, s0
	s_and_b32 s0, s0, exec_lo
	s_delay_alu instid0(SALU_CYCLE_1)
	s_or_b32 s4, s4, s0
.LBB11_29:                              ;   in Loop: Header=BB11_15 Depth=1
	s_or_b32 exec_lo, exec_lo, s8
	s_delay_alu instid0(VALU_DEP_2)
	s_and_saveexec_b32 s0, s4
	s_cbranch_execz .LBB11_31
; %bb.30:                               ;   in Loop: Header=BB11_15 Depth=1
	s_waitcnt lgkmcnt(0)
	v_dual_mov_b32 v15, v16 :: v_dual_mov_b32 v14, v17
	v_mov_b32_e32 v13, v16
.LBB11_31:                              ;   in Loop: Header=BB11_15 Depth=1
	s_or_b32 exec_lo, exec_lo, s0
	ds_bpermute_b32 v15, v12, v15
	ds_bpermute_b32 v16, v12, v14
	s_mov_b32 s8, exec_lo
	s_waitcnt lgkmcnt(1)
	v_cmp_lt_f32_e64 s4, v13, v15
	v_cmpx_nlt_f32_e32 v13, v15
	s_cbranch_execz .LBB11_33
; %bb.32:                               ;   in Loop: Header=BB11_15 Depth=1
	v_cmp_eq_f32_e32 vcc_lo, v13, v15
	s_waitcnt lgkmcnt(0)
	v_cmp_lt_i32_e64 s0, v16, v14
	s_and_not1_b32 s4, s4, exec_lo
	s_delay_alu instid0(VALU_DEP_1) | instskip(NEXT) | instid1(SALU_CYCLE_1)
	s_and_b32 s0, vcc_lo, s0
	s_and_b32 s0, s0, exec_lo
	s_delay_alu instid0(SALU_CYCLE_1)
	s_or_b32 s4, s4, s0
.LBB11_33:                              ;   in Loop: Header=BB11_15 Depth=1
	s_or_b32 exec_lo, exec_lo, s8
	s_delay_alu instid0(VALU_DEP_2)
	s_and_saveexec_b32 s0, s4
	s_cbranch_execz .LBB11_35
; %bb.34:                               ;   in Loop: Header=BB11_15 Depth=1
	s_waitcnt lgkmcnt(0)
	v_dual_mov_b32 v13, v15 :: v_dual_mov_b32 v14, v16
.LBB11_35:                              ;   in Loop: Header=BB11_15 Depth=1
	s_or_b32 exec_lo, exec_lo, s0
	s_delay_alu instid0(VALU_DEP_1) | instskip(NEXT) | instid1(VALU_DEP_1)
	v_and_b32_e32 v15, 31, v14
	v_cmp_eq_u32_e32 vcc_lo, v15, v0
	s_and_saveexec_b32 s0, vcc_lo
	s_cbranch_execz .LBB11_14
; %bb.36:                               ;   in Loop: Header=BB11_15 Depth=1
	v_add_f32_e32 v15, v6, v13
	global_store_b32 v[2:3], v14, off
	v_cndmask_b32_e64 v6, v6, v15, s3
	s_branch .LBB11_14
.LBB11_37:
	s_and_b32 vcc_lo, exec_lo, s3
	s_cbranch_vccnz .LBB11_42
; %bb.38:
	v_cmp_gt_i32_e64 s0, s5, v0
	s_and_not1_b32 vcc_lo, exec_lo, s2
	s_cbranch_vccz .LBB11_43
.LBB11_39:
	v_cmp_gt_i32_e32 vcc_lo, s5, v0
	s_and_b32 exec_lo, exec_lo, vcc_lo
	s_cbranch_execz .LBB11_41
.LBB11_40:
	v_mul_lo_u32 v1, v1, s5
	v_lshlrev_b32_e32 v0, 2, v0
	s_delay_alu instid0(VALU_DEP_2) | instskip(NEXT) | instid1(VALU_DEP_1)
	v_ashrrev_i32_e32 v2, 31, v1
	v_lshlrev_b64 v[1:2], 2, v[1:2]
	s_delay_alu instid0(VALU_DEP_1) | instskip(NEXT) | instid1(VALU_DEP_2)
	v_add_co_u32 v1, vcc_lo, s10, v1
	v_add_co_ci_u32_e32 v2, vcc_lo, s11, v2, vcc_lo
	s_delay_alu instid0(VALU_DEP_2) | instskip(NEXT) | instid1(VALU_DEP_2)
	v_add_co_u32 v0, vcc_lo, v1, v0
	v_add_co_ci_u32_e32 v1, vcc_lo, 0, v2, vcc_lo
	v_mul_f32_e32 v2, s7, v5
	global_store_b32 v[0:1], v2, off
.LBB11_41:
	s_nop 0
	s_sendmsg sendmsg(MSG_DEALLOC_VGPRS)
	s_endpgm
.LBB11_42:
	v_xor_b32_e32 v2, 16, v4
	v_xor_b32_e32 v3, 8, v4
	s_delay_alu instid0(VALU_DEP_2) | instskip(SKIP_1) | instid1(VALU_DEP_3)
	v_cmp_gt_i32_e32 vcc_lo, 32, v2
	v_cndmask_b32_e32 v2, v4, v2, vcc_lo
	v_cmp_gt_i32_e32 vcc_lo, 32, v3
	v_cndmask_b32_e32 v3, v4, v3, vcc_lo
	s_delay_alu instid0(VALU_DEP_1) | instskip(NEXT) | instid1(VALU_DEP_4)
	v_lshlrev_b32_e32 v3, 2, v3
	v_lshlrev_b32_e32 v2, 2, v2
	ds_bpermute_b32 v2, v2, v6
	s_waitcnt lgkmcnt(0)
	v_add_f32_e32 v2, v6, v2
	v_xor_b32_e32 v6, 4, v4
	ds_bpermute_b32 v3, v3, v2
	v_cmp_gt_i32_e32 vcc_lo, 32, v6
	v_cndmask_b32_e32 v6, v4, v6, vcc_lo
	s_delay_alu instid0(VALU_DEP_1) | instskip(SKIP_4) | instid1(VALU_DEP_1)
	v_lshlrev_b32_e32 v6, 2, v6
	s_waitcnt lgkmcnt(0)
	v_add_f32_e32 v2, v2, v3
	ds_bpermute_b32 v3, v6, v2
	v_xor_b32_e32 v6, 2, v4
	v_cmp_gt_i32_e32 vcc_lo, 32, v6
	v_cndmask_b32_e32 v6, v4, v6, vcc_lo
	s_delay_alu instid0(VALU_DEP_1) | instskip(SKIP_4) | instid1(VALU_DEP_1)
	v_lshlrev_b32_e32 v6, 2, v6
	s_waitcnt lgkmcnt(0)
	v_add_f32_e32 v2, v2, v3
	ds_bpermute_b32 v3, v6, v2
	v_xor_b32_e32 v6, 1, v4
	v_cmp_gt_i32_e32 vcc_lo, 32, v6
	v_cndmask_b32_e32 v6, v4, v6, vcc_lo
	s_delay_alu instid0(VALU_DEP_1)
	v_lshlrev_b32_e32 v6, 2, v6
	s_waitcnt lgkmcnt(0)
	v_add_f32_e32 v2, v2, v3
	ds_bpermute_b32 v3, v6, v2
	v_max_f32_e64 v6, s6, s6
	s_waitcnt lgkmcnt(0)
	v_add_f32_e32 v2, v2, v3
	s_delay_alu instid0(VALU_DEP_1) | instskip(NEXT) | instid1(VALU_DEP_1)
	v_max_f32_e32 v2, v2, v6
	v_div_scale_f32 v3, null, v2, v2, 1.0
	s_delay_alu instid0(VALU_DEP_1) | instskip(SKIP_3) | instid1(VALU_DEP_1)
	v_rcp_f32_e32 v6, v3
	s_waitcnt vmcnt(0)
	s_waitcnt_depctr 0xfff
	v_fma_f32 v7, -v3, v6, 1.0
	v_fmac_f32_e32 v6, v7, v6
	v_div_scale_f32 v7, vcc_lo, 1.0, v2, 1.0
	s_delay_alu instid0(VALU_DEP_1) | instskip(NEXT) | instid1(VALU_DEP_1)
	v_mul_f32_e32 v8, v7, v6
	v_fma_f32 v9, -v3, v8, v7
	s_delay_alu instid0(VALU_DEP_1) | instskip(NEXT) | instid1(VALU_DEP_1)
	v_fmac_f32_e32 v8, v9, v6
	v_fma_f32 v3, -v3, v8, v7
	s_delay_alu instid0(VALU_DEP_1) | instskip(NEXT) | instid1(VALU_DEP_1)
	v_div_fmas_f32 v3, v3, v6, v8
	v_div_fixup_f32 v2, v3, v2, 1.0
	s_delay_alu instid0(VALU_DEP_1)
	v_mul_f32_e32 v5, v5, v2
	v_cmp_gt_i32_e64 s0, s5, v0
	s_and_not1_b32 vcc_lo, exec_lo, s2
	s_cbranch_vccnz .LBB11_39
.LBB11_43:
	v_xor_b32_e32 v3, 16, v4
	s_waitcnt vmcnt(0)
	v_xor_b32_e32 v7, 8, v4
	v_xor_b32_e32 v8, 4, v4
	;; [unrolled: 1-line block ×4, first 2 shown]
	v_cmp_gt_i32_e32 vcc_lo, 32, v3
	v_dual_max_f32 v2, v5, v5 :: v_dual_cndmask_b32 v3, v4, v3
	s_delay_alu instid0(VALU_DEP_1) | instskip(SKIP_1) | instid1(VALU_DEP_3)
	v_max_f32_e32 v2, 0xff800000, v2
	v_cmp_gt_i32_e32 vcc_lo, 32, v7
	v_lshlrev_b32_e32 v3, 2, v3
	s_delay_alu instid0(VALU_DEP_3)
	v_cndmask_b32_e64 v2, 0xff800000, v2, s0
	ds_bpermute_b32 v6, v3, v2
	v_cndmask_b32_e32 v7, v4, v7, vcc_lo
	v_cmp_gt_i32_e32 vcc_lo, 32, v8
	v_cndmask_b32_e32 v8, v4, v8, vcc_lo
	v_cmp_gt_i32_e32 vcc_lo, 32, v9
	;; [unrolled: 2-line block ×3, first 2 shown]
	s_delay_alu instid0(VALU_DEP_2) | instskip(SKIP_4) | instid1(VALU_DEP_2)
	v_lshlrev_b32_e32 v9, 2, v9
	v_lshlrev_b32_e32 v8, 2, v8
	s_waitcnt lgkmcnt(0)
	v_dual_max_f32 v6, v6, v6 :: v_dual_lshlrev_b32 v7, 2, v7
	v_cndmask_b32_e32 v4, v4, v10, vcc_lo
	v_max_f32_e32 v2, v2, v6
	s_delay_alu instid0(VALU_DEP_2) | instskip(SKIP_3) | instid1(VALU_DEP_1)
	v_lshlrev_b32_e32 v4, 2, v4
	ds_bpermute_b32 v6, v7, v2
	s_waitcnt lgkmcnt(0)
	v_max_f32_e32 v6, v6, v6
	v_max_f32_e32 v2, v2, v6
	ds_bpermute_b32 v6, v8, v2
	s_waitcnt lgkmcnt(0)
	v_max_f32_e32 v6, v6, v6
	s_delay_alu instid0(VALU_DEP_1) | instskip(SKIP_3) | instid1(VALU_DEP_1)
	v_max_f32_e32 v2, v2, v6
	ds_bpermute_b32 v6, v9, v2
	s_waitcnt lgkmcnt(0)
	v_max_f32_e32 v6, v6, v6
	v_max_f32_e32 v2, v2, v6
	ds_bpermute_b32 v6, v4, v2
	s_waitcnt lgkmcnt(0)
	v_max_f32_e32 v6, v6, v6
	s_delay_alu instid0(VALU_DEP_1) | instskip(NEXT) | instid1(VALU_DEP_1)
	v_max_f32_e32 v2, v2, v6
	v_sub_f32_e32 v2, v5, v2
	s_delay_alu instid0(VALU_DEP_1) | instskip(SKIP_1) | instid1(VALU_DEP_2)
	v_mul_f32_e32 v5, 0x3fb8aa3b, v2
	v_cmp_ngt_f32_e32 vcc_lo, 0xc2ce8ed0, v2
	v_fma_f32 v6, 0x3fb8aa3b, v2, -v5
	v_rndne_f32_e32 v10, v5
	s_delay_alu instid0(VALU_DEP_1) | instskip(NEXT) | instid1(VALU_DEP_1)
	v_dual_fmamk_f32 v6, v2, 0x32a5705f, v6 :: v_dual_sub_f32 v5, v5, v10
	v_add_f32_e32 v5, v5, v6
	v_cvt_i32_f32_e32 v6, v10
	s_delay_alu instid0(VALU_DEP_2) | instskip(SKIP_2) | instid1(VALU_DEP_1)
	v_exp_f32_e32 v5, v5
	s_waitcnt_depctr 0xfff
	v_ldexp_f32 v5, v5, v6
	v_cndmask_b32_e32 v5, 0, v5, vcc_lo
	v_cmp_nlt_f32_e32 vcc_lo, 0x42b17218, v2
	s_delay_alu instid0(VALU_DEP_2) | instskip(NEXT) | instid1(VALU_DEP_1)
	v_cndmask_b32_e32 v2, 0x7f800000, v5, vcc_lo
	v_cndmask_b32_e64 v5, 0, v2, s0
	ds_bpermute_b32 v3, v3, v5
	s_waitcnt lgkmcnt(0)
	v_add_f32_e32 v3, v5, v3
	ds_bpermute_b32 v5, v7, v3
	s_waitcnt lgkmcnt(0)
	v_add_f32_e32 v3, v3, v5
	;; [unrolled: 3-line block ×4, first 2 shown]
	v_mov_b32_e32 v5, 0
	ds_bpermute_b32 v4, v4, v3
	s_and_saveexec_b32 s1, s0
	s_cbranch_execz .LBB11_45
; %bb.44:
	s_waitcnt lgkmcnt(0)
	v_add_f32_e32 v3, v3, v4
	s_delay_alu instid0(VALU_DEP_1) | instskip(NEXT) | instid1(VALU_DEP_1)
	v_div_scale_f32 v4, null, v3, v3, 1.0
	v_rcp_f32_e32 v5, v4
	s_waitcnt_depctr 0xfff
	v_fma_f32 v6, -v4, v5, 1.0
	s_delay_alu instid0(VALU_DEP_1) | instskip(SKIP_1) | instid1(VALU_DEP_1)
	v_fmac_f32_e32 v5, v6, v5
	v_div_scale_f32 v6, vcc_lo, 1.0, v3, 1.0
	v_mul_f32_e32 v7, v6, v5
	s_delay_alu instid0(VALU_DEP_1) | instskip(NEXT) | instid1(VALU_DEP_1)
	v_fma_f32 v8, -v4, v7, v6
	v_fmac_f32_e32 v7, v8, v5
	s_delay_alu instid0(VALU_DEP_1) | instskip(NEXT) | instid1(VALU_DEP_1)
	v_fma_f32 v4, -v4, v7, v6
	v_div_fmas_f32 v4, v4, v5, v7
	s_delay_alu instid0(VALU_DEP_1) | instskip(NEXT) | instid1(VALU_DEP_1)
	v_div_fixup_f32 v3, v4, v3, 1.0
	v_mul_f32_e32 v5, v2, v3
.LBB11_45:
	s_or_b32 exec_lo, exec_lo, s1
	v_cmp_gt_i32_e32 vcc_lo, s5, v0
	s_and_b32 exec_lo, exec_lo, vcc_lo
	s_cbranch_execnz .LBB11_40
	s_branch .LBB11_41
	.section	.rodata,"a",@progbits
	.p2align	6, 0x0
	.amdhsa_kernel _Z13topk_moe_cudaILi1ELb0EEvPKfPfPiS2_iiff15topk_moe_config
		.amdhsa_group_segment_fixed_size 0
		.amdhsa_private_segment_fixed_size 0
		.amdhsa_kernarg_size 312
		.amdhsa_user_sgpr_count 15
		.amdhsa_user_sgpr_dispatch_ptr 0
		.amdhsa_user_sgpr_queue_ptr 0
		.amdhsa_user_sgpr_kernarg_segment_ptr 1
		.amdhsa_user_sgpr_dispatch_id 0
		.amdhsa_user_sgpr_private_segment_size 0
		.amdhsa_wavefront_size32 1
		.amdhsa_uses_dynamic_stack 0
		.amdhsa_enable_private_segment 0
		.amdhsa_system_sgpr_workgroup_id_x 1
		.amdhsa_system_sgpr_workgroup_id_y 0
		.amdhsa_system_sgpr_workgroup_id_z 0
		.amdhsa_system_sgpr_workgroup_info 0
		.amdhsa_system_vgpr_workitem_id 1
		.amdhsa_next_free_vgpr 18
		.amdhsa_next_free_sgpr 16
		.amdhsa_reserve_vcc 1
		.amdhsa_float_round_mode_32 0
		.amdhsa_float_round_mode_16_64 0
		.amdhsa_float_denorm_mode_32 3
		.amdhsa_float_denorm_mode_16_64 3
		.amdhsa_dx10_clamp 1
		.amdhsa_ieee_mode 1
		.amdhsa_fp16_overflow 0
		.amdhsa_workgroup_processor_mode 1
		.amdhsa_memory_ordered 1
		.amdhsa_forward_progress 0
		.amdhsa_shared_vgpr_count 0
		.amdhsa_exception_fp_ieee_invalid_op 0
		.amdhsa_exception_fp_denorm_src 0
		.amdhsa_exception_fp_ieee_div_zero 0
		.amdhsa_exception_fp_ieee_overflow 0
		.amdhsa_exception_fp_ieee_underflow 0
		.amdhsa_exception_fp_ieee_inexact 0
		.amdhsa_exception_int_div_zero 0
	.end_amdhsa_kernel
	.section	.text._Z13topk_moe_cudaILi1ELb0EEvPKfPfPiS2_iiff15topk_moe_config,"axG",@progbits,_Z13topk_moe_cudaILi1ELb0EEvPKfPfPiS2_iiff15topk_moe_config,comdat
.Lfunc_end11:
	.size	_Z13topk_moe_cudaILi1ELb0EEvPKfPfPiS2_iiff15topk_moe_config, .Lfunc_end11-_Z13topk_moe_cudaILi1ELb0EEvPKfPfPiS2_iiff15topk_moe_config
                                        ; -- End function
	.section	.AMDGPU.csdata,"",@progbits
; Kernel info:
; codeLenInByte = 2936
; NumSgprs: 18
; NumVgprs: 18
; ScratchSize: 0
; MemoryBound: 0
; FloatMode: 240
; IeeeMode: 1
; LDSByteSize: 0 bytes/workgroup (compile time only)
; SGPRBlocks: 2
; VGPRBlocks: 2
; NumSGPRsForWavesPerEU: 18
; NumVGPRsForWavesPerEU: 18
; Occupancy: 16
; WaveLimiterHint : 0
; COMPUTE_PGM_RSRC2:SCRATCH_EN: 0
; COMPUTE_PGM_RSRC2:USER_SGPR: 15
; COMPUTE_PGM_RSRC2:TRAP_HANDLER: 0
; COMPUTE_PGM_RSRC2:TGID_X_EN: 1
; COMPUTE_PGM_RSRC2:TGID_Y_EN: 0
; COMPUTE_PGM_RSRC2:TGID_Z_EN: 0
; COMPUTE_PGM_RSRC2:TIDIG_COMP_CNT: 1
	.section	.text._Z13topk_moe_cudaILi2ELb0EEvPKfPfPiS2_iiff15topk_moe_config,"axG",@progbits,_Z13topk_moe_cudaILi2ELb0EEvPKfPfPiS2_iiff15topk_moe_config,comdat
	.protected	_Z13topk_moe_cudaILi2ELb0EEvPKfPfPiS2_iiff15topk_moe_config ; -- Begin function _Z13topk_moe_cudaILi2ELb0EEvPKfPfPiS2_iiff15topk_moe_config
	.globl	_Z13topk_moe_cudaILi2ELb0EEvPKfPfPiS2_iiff15topk_moe_config
	.p2align	8
	.type	_Z13topk_moe_cudaILi2ELb0EEvPKfPfPiS2_iiff15topk_moe_config,@function
_Z13topk_moe_cudaILi2ELb0EEvPKfPfPiS2_iiff15topk_moe_config: ; @_Z13topk_moe_cudaILi2ELb0EEvPKfPfPiS2_iiff15topk_moe_config
; %bb.0:
	s_clause 0x1
	s_load_b32 s2, s[0:1], 0x44
	s_load_b128 s[4:7], s[0:1], 0x20
	v_bfe_u32 v3, v0, 10, 10
	s_waitcnt lgkmcnt(0)
	s_lshr_b32 s2, s2, 16
	s_delay_alu instid0(VALU_DEP_1) | instid1(SALU_CYCLE_1)
	v_mad_u64_u32 v[1:2], null, s15, s2, v[3:4]
	s_mov_b32 s2, exec_lo
	s_delay_alu instid0(VALU_DEP_1)
	v_cmpx_gt_i32_e64 s4, v1
	s_cbranch_execz .LBB12_41
; %bb.1:
	v_mov_b32_e32 v2, 0
	v_mov_b32_e32 v8, 0xff800000
	s_clause 0x1
	global_load_u16 v3, v2, s[0:1] offset:48
	global_load_u8 v5, v2, s[0:1] offset:50
	s_clause 0x1
	s_load_b128 s[8:11], s[0:1], 0x0
	s_load_b64 s[0:1], s[0:1], 0x10
	s_waitcnt vmcnt(1)
	v_lshrrev_b32_e32 v2, 8, v3
	v_and_b32_e32 v3, 0xff, v3
	s_waitcnt vmcnt(0)
	v_readfirstlane_b32 s3, v5
	s_delay_alu instid0(VALU_DEP_3) | instskip(SKIP_1) | instid1(VALU_DEP_3)
	v_lshlrev_b16 v4, 8, v2
	v_lshlrev_b32_e32 v2, 1, v1
	s_lshl_b32 s3, s3, 16
	s_delay_alu instid0(VALU_DEP_2) | instskip(NEXT) | instid1(VALU_DEP_2)
	v_or_b32_e32 v6, v3, v4
	v_ashrrev_i32_e32 v3, 31, v2
	v_and_b32_e32 v4, 0x3ff, v0
	s_delay_alu instid0(VALU_DEP_3) | instskip(NEXT) | instid1(VALU_DEP_3)
	v_readfirstlane_b32 s2, v6
	v_lshlrev_b64 v[2:3], 2, v[2:3]
	s_delay_alu instid0(VALU_DEP_3) | instskip(NEXT) | instid1(VALU_DEP_3)
	v_lshlrev_b32_e32 v0, 2, v4
	s_and_b32 s2, 0xffff, s2
	s_delay_alu instid0(SALU_CYCLE_1)
	s_or_b32 s3, s2, s3
	s_mov_b32 s2, exec_lo
	v_cmpx_gt_u32_e32 2, v4
	s_cbranch_execz .LBB12_3
; %bb.2:
	s_waitcnt lgkmcnt(0)
	v_add_co_u32 v5, vcc_lo, s8, v2
	v_add_co_ci_u32_e32 v6, vcc_lo, s9, v3, vcc_lo
	s_delay_alu instid0(VALU_DEP_2) | instskip(NEXT) | instid1(VALU_DEP_2)
	v_add_co_u32 v5, vcc_lo, v5, v0
	v_add_co_ci_u32_e32 v6, vcc_lo, 0, v6, vcc_lo
	global_load_b32 v8, v[5:6], off
.LBB12_3:
	s_or_b32 exec_lo, exec_lo, s2
	s_bitcmp1_b32 s3, 16
	s_cselect_b32 s2, -1, 0
	s_delay_alu instid0(SALU_CYCLE_1)
	s_and_b32 vcc_lo, exec_lo, s2
	s_cbranch_vccnz .LBB12_9
; %bb.4:
	s_bitcmp0_b32 s3, 0
	s_mov_b32 s4, 0
	s_cbranch_scc0 .LBB12_6
; %bb.5:
	v_mbcnt_lo_u32_b32 v5, -1, 0
	s_delay_alu instid0(VALU_DEP_1)
	v_xor_b32_e32 v6, 16, v5
	v_xor_b32_e32 v10, 8, v5
	;; [unrolled: 1-line block ×5, first 2 shown]
	v_cmp_gt_i32_e32 vcc_lo, 32, v6
	s_waitcnt vmcnt(0)
	v_dual_max_f32 v7, v8, v8 :: v_dual_cndmask_b32 v6, v5, v6
	s_delay_alu instid0(VALU_DEP_1) | instskip(SKIP_1) | instid1(VALU_DEP_3)
	v_max_f32_e32 v7, 0xff800000, v7
	v_cmp_gt_i32_e32 vcc_lo, 32, v10
	v_lshlrev_b32_e32 v6, 2, v6
	ds_bpermute_b32 v9, v6, v7
	s_waitcnt lgkmcnt(0)
	v_max_f32_e32 v9, v9, v9
	v_cndmask_b32_e32 v10, v5, v10, vcc_lo
	v_cmp_gt_i32_e32 vcc_lo, 32, v11
	s_delay_alu instid0(VALU_DEP_2)
	v_dual_max_f32 v7, v7, v9 :: v_dual_lshlrev_b32 v10, 2, v10
	v_cndmask_b32_e32 v11, v5, v11, vcc_lo
	v_cmp_gt_i32_e32 vcc_lo, 32, v12
	ds_bpermute_b32 v9, v10, v7
	v_cndmask_b32_e32 v12, v5, v12, vcc_lo
	v_cmp_gt_i32_e32 vcc_lo, 32, v13
	s_delay_alu instid0(VALU_DEP_2) | instskip(SKIP_2) | instid1(VALU_DEP_1)
	v_lshlrev_b32_e32 v12, 2, v12
	v_lshlrev_b32_e32 v11, 2, v11
	v_cndmask_b32_e32 v5, v5, v13, vcc_lo
	v_lshlrev_b32_e32 v5, 2, v5
	s_waitcnt lgkmcnt(0)
	v_max_f32_e32 v9, v9, v9
	s_delay_alu instid0(VALU_DEP_1) | instskip(SKIP_3) | instid1(VALU_DEP_1)
	v_max_f32_e32 v7, v7, v9
	ds_bpermute_b32 v9, v11, v7
	s_waitcnt lgkmcnt(0)
	v_max_f32_e32 v9, v9, v9
	v_max_f32_e32 v7, v7, v9
	ds_bpermute_b32 v9, v12, v7
	s_waitcnt lgkmcnt(0)
	v_max_f32_e32 v9, v9, v9
	s_delay_alu instid0(VALU_DEP_1) | instskip(SKIP_3) | instid1(VALU_DEP_1)
	v_max_f32_e32 v7, v7, v9
	ds_bpermute_b32 v9, v5, v7
	s_waitcnt lgkmcnt(0)
	v_max_f32_e32 v9, v9, v9
	v_max_f32_e32 v7, v7, v9
	s_delay_alu instid0(VALU_DEP_1) | instskip(NEXT) | instid1(VALU_DEP_1)
	v_sub_f32_e32 v7, v8, v7
	v_mul_f32_e32 v9, 0x3fb8aa3b, v7
	v_cmp_ngt_f32_e32 vcc_lo, 0xc2ce8ed0, v7
	s_delay_alu instid0(VALU_DEP_2) | instskip(SKIP_1) | instid1(VALU_DEP_2)
	v_fma_f32 v13, 0x3fb8aa3b, v7, -v9
	v_rndne_f32_e32 v14, v9
	v_fmamk_f32 v13, v7, 0x32a5705f, v13
	s_delay_alu instid0(VALU_DEP_2) | instskip(NEXT) | instid1(VALU_DEP_1)
	v_sub_f32_e32 v9, v9, v14
	v_add_f32_e32 v9, v9, v13
	v_cvt_i32_f32_e32 v13, v14
	s_delay_alu instid0(VALU_DEP_2) | instskip(SKIP_2) | instid1(VALU_DEP_1)
	v_exp_f32_e32 v9, v9
	s_waitcnt_depctr 0xfff
	v_ldexp_f32 v9, v9, v13
	v_cndmask_b32_e32 v9, 0, v9, vcc_lo
	v_cmp_nlt_f32_e32 vcc_lo, 0x42b17218, v7
	s_delay_alu instid0(VALU_DEP_2)
	v_cndmask_b32_e32 v7, 0x7f800000, v9, vcc_lo
	ds_bpermute_b32 v6, v6, v7
	s_waitcnt lgkmcnt(0)
	v_add_f32_e32 v6, v7, v6
	ds_bpermute_b32 v9, v10, v6
	s_waitcnt lgkmcnt(0)
	v_add_f32_e32 v6, v6, v9
	;; [unrolled: 3-line block ×5, first 2 shown]
	s_delay_alu instid0(VALU_DEP_1) | instskip(NEXT) | instid1(VALU_DEP_1)
	v_div_scale_f32 v6, null, v5, v5, 1.0
	v_rcp_f32_e32 v9, v6
	s_waitcnt_depctr 0xfff
	v_fma_f32 v10, -v6, v9, 1.0
	s_delay_alu instid0(VALU_DEP_1) | instskip(SKIP_1) | instid1(VALU_DEP_1)
	v_fmac_f32_e32 v9, v10, v9
	v_div_scale_f32 v10, vcc_lo, 1.0, v5, 1.0
	v_mul_f32_e32 v11, v10, v9
	s_delay_alu instid0(VALU_DEP_1) | instskip(NEXT) | instid1(VALU_DEP_1)
	v_fma_f32 v12, -v6, v11, v10
	v_fmac_f32_e32 v11, v12, v9
	s_delay_alu instid0(VALU_DEP_1) | instskip(NEXT) | instid1(VALU_DEP_1)
	v_fma_f32 v6, -v6, v11, v10
	v_div_fmas_f32 v6, v6, v9, v11
	s_delay_alu instid0(VALU_DEP_1) | instskip(NEXT) | instid1(VALU_DEP_1)
	v_div_fixup_f32 v5, v6, v5, 1.0
	v_mul_f32_e32 v5, v7, v5
	s_and_not1_b32 vcc_lo, exec_lo, s4
	s_cbranch_vccz .LBB12_7
	s_branch .LBB12_8
.LBB12_6:
                                        ; implicit-def: $vgpr5
.LBB12_7:
	s_waitcnt vmcnt(0)
	v_mul_f32_e32 v5, 0xbfb8aa3b, v8
	v_cmp_nlt_f32_e32 vcc_lo, 0x42ce8ed0, v8
	s_delay_alu instid0(VALU_DEP_2) | instskip(SKIP_1) | instid1(VALU_DEP_2)
	v_rndne_f32_e32 v6, v5
	v_fma_f32 v7, 0xbfb8aa3b, v8, -v5
	v_sub_f32_e32 v5, v5, v6
	s_delay_alu instid0(VALU_DEP_2) | instskip(SKIP_1) | instid1(VALU_DEP_2)
	v_fmamk_f32 v7, v8, 0xb2a5705f, v7
	v_cvt_i32_f32_e32 v6, v6
	v_add_f32_e32 v5, v5, v7
	s_delay_alu instid0(VALU_DEP_1) | instskip(SKIP_2) | instid1(VALU_DEP_1)
	v_exp_f32_e32 v5, v5
	s_waitcnt_depctr 0xfff
	v_ldexp_f32 v5, v5, v6
	v_cndmask_b32_e32 v5, 0, v5, vcc_lo
	v_cmp_ngt_f32_e32 vcc_lo, 0xc2b17218, v8
	s_delay_alu instid0(VALU_DEP_2) | instskip(NEXT) | instid1(VALU_DEP_1)
	v_cndmask_b32_e32 v5, 0x7f800000, v5, vcc_lo
	v_add_f32_e32 v5, 1.0, v5
	s_delay_alu instid0(VALU_DEP_1) | instskip(NEXT) | instid1(VALU_DEP_1)
	v_div_scale_f32 v6, null, v5, v5, 1.0
	v_rcp_f32_e32 v7, v6
	s_waitcnt_depctr 0xfff
	v_fma_f32 v8, -v6, v7, 1.0
	s_delay_alu instid0(VALU_DEP_1) | instskip(SKIP_1) | instid1(VALU_DEP_1)
	v_fmac_f32_e32 v7, v8, v7
	v_div_scale_f32 v8, vcc_lo, 1.0, v5, 1.0
	v_mul_f32_e32 v9, v8, v7
	s_delay_alu instid0(VALU_DEP_1) | instskip(NEXT) | instid1(VALU_DEP_1)
	v_fma_f32 v10, -v6, v9, v8
	v_fmac_f32_e32 v9, v10, v7
	s_delay_alu instid0(VALU_DEP_1) | instskip(NEXT) | instid1(VALU_DEP_1)
	v_fma_f32 v6, -v6, v9, v8
	v_div_fmas_f32 v6, v6, v7, v9
	s_delay_alu instid0(VALU_DEP_1)
	v_div_fixup_f32 v5, v6, v5, 1.0
.LBB12_8:
	s_waitcnt vmcnt(0)
	s_delay_alu instid0(VALU_DEP_1)
	v_mov_b32_e32 v8, v5
.LBB12_9:
	s_lshr_b32 s4, s3, 8
	s_cmp_gt_i32 s5, 0
	s_waitcnt lgkmcnt(0)
	s_mov_b32 s8, 0
	s_cbranch_scc1 .LBB12_11
; %bb.10:
	s_bitcmp1_b32 s4, 0
	s_mov_b32 s9, 0
	s_cselect_b32 s3, -1, 0
	s_branch .LBB12_12
.LBB12_11:
	s_mov_b32 s8, -1
                                        ; implicit-def: $sgpr9
                                        ; implicit-def: $sgpr3
.LBB12_12:
	v_dual_mov_b32 v7, s9 :: v_dual_mov_b32 v6, s9
	v_mbcnt_lo_u32_b32 v5, -1, 0
	s_and_not1_b32 vcc_lo, exec_lo, s8
	s_cbranch_vccnz .LBB12_37
; %bb.13:
	v_add_co_u32 v2, vcc_lo, s0, v2
	v_add_co_ci_u32_e32 v3, vcc_lo, s1, v3, vcc_lo
	v_xor_b32_e32 v6, 16, v5
	s_waitcnt vmcnt(0)
	v_cmp_o_f32_e32 vcc_lo, v8, v8
	v_xor_b32_e32 v7, 8, v5
	v_xor_b32_e32 v9, 4, v5
	;; [unrolled: 1-line block ×4, first 2 shown]
	v_cndmask_b32_e32 v8, 0xff7fffff, v8, vcc_lo
	v_cmp_gt_i32_e32 vcc_lo, 32, v6
	s_bitcmp1_b32 s4, 0
	s_mov_b32 s1, 0
	s_cselect_b32 s3, -1, 0
	v_cndmask_b32_e32 v6, v5, v6, vcc_lo
	v_cmp_gt_i32_e32 vcc_lo, 32, v7
	v_cndmask_b32_e32 v7, v5, v7, vcc_lo
	v_cmp_gt_i32_e32 vcc_lo, 32, v9
	;; [unrolled: 2-line block ×4, first 2 shown]
	s_delay_alu instid0(VALU_DEP_4) | instskip(SKIP_1) | instid1(VALU_DEP_4)
	v_dual_cndmask_b32 v14, v5, v11 :: v_dual_lshlrev_b32 v11, 2, v12
	v_lshlrev_b32_e32 v9, 2, v6
	v_lshlrev_b32_e32 v12, 2, v13
	v_dual_mov_b32 v7, 0 :: v_dual_lshlrev_b32 v10, 2, v7
	s_delay_alu instid0(VALU_DEP_4)
	v_dual_mov_b32 v6, 0 :: v_dual_lshlrev_b32 v13, 2, v14
	s_branch .LBB12_15
.LBB12_14:                              ;   in Loop: Header=BB12_15 Depth=1
	s_or_b32 exec_lo, exec_lo, s0
	s_and_b32 s0, s1, 31
	v_cndmask_b32_e64 v8, v8, 0xff800000, vcc_lo
	v_cmp_eq_u32_e32 vcc_lo, s0, v4
	s_add_i32 s1, s1, 1
	s_delay_alu instid0(SALU_CYCLE_1)
	s_cmp_eq_u32 s5, s1
	v_cndmask_b32_e32 v6, v6, v14, vcc_lo
	v_add_co_u32 v2, vcc_lo, v2, 4
	v_add_co_ci_u32_e32 v3, vcc_lo, 0, v3, vcc_lo
	s_cbranch_scc1 .LBB12_37
.LBB12_15:                              ; =>This Inner Loop Header: Depth=1
	s_waitcnt lgkmcnt(0)
	ds_bpermute_b32 v17, v9, v8
	ds_bpermute_b32 v18, v9, v4
	s_mov_b32 s8, exec_lo
                                        ; implicit-def: $vgpr16
	s_waitcnt lgkmcnt(1)
	v_cmp_lt_f32_e64 s4, v8, v17
	v_cmpx_nlt_f32_e32 v8, v17
	s_cbranch_execz .LBB12_17
; %bb.16:                               ;   in Loop: Header=BB12_15 Depth=1
	v_cmp_eq_f32_e32 vcc_lo, v8, v17
	s_waitcnt lgkmcnt(0)
	v_cmp_lt_i32_e64 s0, v18, v4
	v_mov_b32_e32 v16, v8
	s_and_not1_b32 s4, s4, exec_lo
	s_delay_alu instid0(VALU_DEP_2) | instskip(NEXT) | instid1(SALU_CYCLE_1)
	s_and_b32 s0, vcc_lo, s0
	s_and_b32 s0, s0, exec_lo
	s_delay_alu instid0(SALU_CYCLE_1)
	s_or_b32 s4, s4, s0
.LBB12_17:                              ;   in Loop: Header=BB12_15 Depth=1
	s_or_b32 exec_lo, exec_lo, s8
	v_mov_b32_e32 v14, v8
	v_mov_b32_e32 v15, v4
	s_and_saveexec_b32 s0, s4
	s_cbranch_execz .LBB12_19
; %bb.18:                               ;   in Loop: Header=BB12_15 Depth=1
	s_waitcnt lgkmcnt(0)
	v_dual_mov_b32 v16, v17 :: v_dual_mov_b32 v15, v18
	v_mov_b32_e32 v14, v17
.LBB12_19:                              ;   in Loop: Header=BB12_15 Depth=1
	s_or_b32 exec_lo, exec_lo, s0
	ds_bpermute_b32 v17, v10, v16
	s_waitcnt lgkmcnt(1)
	ds_bpermute_b32 v18, v10, v15
	s_mov_b32 s8, exec_lo
	s_waitcnt lgkmcnt(1)
	v_cmp_lt_f32_e64 s4, v14, v17
	v_cmpx_nlt_f32_e32 v14, v17
	s_cbranch_execz .LBB12_21
; %bb.20:                               ;   in Loop: Header=BB12_15 Depth=1
	v_cmp_eq_f32_e32 vcc_lo, v14, v17
	s_waitcnt lgkmcnt(0)
	v_cmp_lt_i32_e64 s0, v18, v15
	s_and_not1_b32 s4, s4, exec_lo
	s_delay_alu instid0(VALU_DEP_1) | instskip(NEXT) | instid1(SALU_CYCLE_1)
	s_and_b32 s0, vcc_lo, s0
	s_and_b32 s0, s0, exec_lo
	s_delay_alu instid0(SALU_CYCLE_1)
	s_or_b32 s4, s4, s0
.LBB12_21:                              ;   in Loop: Header=BB12_15 Depth=1
	s_or_b32 exec_lo, exec_lo, s8
	s_delay_alu instid0(VALU_DEP_2)
	s_and_saveexec_b32 s0, s4
	s_cbranch_execz .LBB12_23
; %bb.22:                               ;   in Loop: Header=BB12_15 Depth=1
	s_waitcnt lgkmcnt(0)
	v_dual_mov_b32 v16, v17 :: v_dual_mov_b32 v15, v18
	v_mov_b32_e32 v14, v17
.LBB12_23:                              ;   in Loop: Header=BB12_15 Depth=1
	s_or_b32 exec_lo, exec_lo, s0
	ds_bpermute_b32 v17, v11, v16
	s_waitcnt lgkmcnt(1)
	ds_bpermute_b32 v18, v11, v15
	s_mov_b32 s8, exec_lo
	s_waitcnt lgkmcnt(1)
	v_cmp_lt_f32_e64 s4, v14, v17
	v_cmpx_nlt_f32_e32 v14, v17
	s_cbranch_execz .LBB12_25
; %bb.24:                               ;   in Loop: Header=BB12_15 Depth=1
	v_cmp_eq_f32_e32 vcc_lo, v14, v17
	s_waitcnt lgkmcnt(0)
	v_cmp_lt_i32_e64 s0, v18, v15
	s_and_not1_b32 s4, s4, exec_lo
	s_delay_alu instid0(VALU_DEP_1) | instskip(NEXT) | instid1(SALU_CYCLE_1)
	s_and_b32 s0, vcc_lo, s0
	s_and_b32 s0, s0, exec_lo
	s_delay_alu instid0(SALU_CYCLE_1)
	s_or_b32 s4, s4, s0
.LBB12_25:                              ;   in Loop: Header=BB12_15 Depth=1
	s_or_b32 exec_lo, exec_lo, s8
	s_delay_alu instid0(VALU_DEP_2)
	;; [unrolled: 29-line block ×3, first 2 shown]
	s_and_saveexec_b32 s0, s4
	s_cbranch_execz .LBB12_31
; %bb.30:                               ;   in Loop: Header=BB12_15 Depth=1
	s_waitcnt lgkmcnt(0)
	v_dual_mov_b32 v16, v17 :: v_dual_mov_b32 v15, v18
	v_mov_b32_e32 v14, v17
.LBB12_31:                              ;   in Loop: Header=BB12_15 Depth=1
	s_or_b32 exec_lo, exec_lo, s0
	ds_bpermute_b32 v16, v13, v16
	ds_bpermute_b32 v17, v13, v15
	s_mov_b32 s8, exec_lo
	s_waitcnt lgkmcnt(1)
	v_cmp_lt_f32_e64 s4, v14, v16
	v_cmpx_nlt_f32_e32 v14, v16
	s_cbranch_execz .LBB12_33
; %bb.32:                               ;   in Loop: Header=BB12_15 Depth=1
	v_cmp_eq_f32_e32 vcc_lo, v14, v16
	s_waitcnt lgkmcnt(0)
	v_cmp_lt_i32_e64 s0, v17, v15
	s_and_not1_b32 s4, s4, exec_lo
	s_delay_alu instid0(VALU_DEP_1) | instskip(NEXT) | instid1(SALU_CYCLE_1)
	s_and_b32 s0, vcc_lo, s0
	s_and_b32 s0, s0, exec_lo
	s_delay_alu instid0(SALU_CYCLE_1)
	s_or_b32 s4, s4, s0
.LBB12_33:                              ;   in Loop: Header=BB12_15 Depth=1
	s_or_b32 exec_lo, exec_lo, s8
	s_delay_alu instid0(VALU_DEP_2)
	s_and_saveexec_b32 s0, s4
	s_cbranch_execz .LBB12_35
; %bb.34:                               ;   in Loop: Header=BB12_15 Depth=1
	s_waitcnt lgkmcnt(0)
	v_dual_mov_b32 v14, v16 :: v_dual_mov_b32 v15, v17
.LBB12_35:                              ;   in Loop: Header=BB12_15 Depth=1
	s_or_b32 exec_lo, exec_lo, s0
	s_delay_alu instid0(VALU_DEP_1) | instskip(NEXT) | instid1(VALU_DEP_1)
	v_and_b32_e32 v16, 31, v15
	v_cmp_eq_u32_e32 vcc_lo, v16, v4
	s_and_saveexec_b32 s0, vcc_lo
	s_cbranch_execz .LBB12_14
; %bb.36:                               ;   in Loop: Header=BB12_15 Depth=1
	v_add_f32_e32 v16, v7, v14
	global_store_b32 v[2:3], v15, off
	v_cndmask_b32_e64 v7, v7, v16, s3
	s_branch .LBB12_14
.LBB12_37:
	s_and_b32 vcc_lo, exec_lo, s3
	s_cbranch_vccnz .LBB12_42
; %bb.38:
	v_cmp_gt_i32_e64 s0, s5, v4
	s_and_not1_b32 vcc_lo, exec_lo, s2
	s_cbranch_vccz .LBB12_43
.LBB12_39:
	v_cmp_gt_i32_e32 vcc_lo, s5, v4
	s_and_b32 exec_lo, exec_lo, vcc_lo
	s_cbranch_execz .LBB12_41
.LBB12_40:
	v_mul_lo_u32 v1, v1, s5
	s_delay_alu instid0(VALU_DEP_1) | instskip(NEXT) | instid1(VALU_DEP_1)
	v_ashrrev_i32_e32 v2, 31, v1
	v_lshlrev_b64 v[1:2], 2, v[1:2]
	s_delay_alu instid0(VALU_DEP_1) | instskip(NEXT) | instid1(VALU_DEP_2)
	v_add_co_u32 v1, vcc_lo, s10, v1
	v_add_co_ci_u32_e32 v2, vcc_lo, s11, v2, vcc_lo
	s_delay_alu instid0(VALU_DEP_2) | instskip(NEXT) | instid1(VALU_DEP_2)
	v_add_co_u32 v0, vcc_lo, v1, v0
	v_add_co_ci_u32_e32 v1, vcc_lo, 0, v2, vcc_lo
	v_mul_f32_e32 v2, s7, v6
	global_store_b32 v[0:1], v2, off
.LBB12_41:
	s_nop 0
	s_sendmsg sendmsg(MSG_DEALLOC_VGPRS)
	s_endpgm
.LBB12_42:
	v_xor_b32_e32 v2, 16, v5
	v_xor_b32_e32 v3, 8, v5
	s_delay_alu instid0(VALU_DEP_2) | instskip(SKIP_1) | instid1(VALU_DEP_3)
	v_cmp_gt_i32_e32 vcc_lo, 32, v2
	v_cndmask_b32_e32 v2, v5, v2, vcc_lo
	v_cmp_gt_i32_e32 vcc_lo, 32, v3
	v_cndmask_b32_e32 v3, v5, v3, vcc_lo
	s_delay_alu instid0(VALU_DEP_1) | instskip(NEXT) | instid1(VALU_DEP_4)
	v_lshlrev_b32_e32 v3, 2, v3
	v_lshlrev_b32_e32 v2, 2, v2
	ds_bpermute_b32 v2, v2, v7
	s_waitcnt lgkmcnt(0)
	v_add_f32_e32 v2, v7, v2
	v_xor_b32_e32 v7, 4, v5
	ds_bpermute_b32 v3, v3, v2
	v_cmp_gt_i32_e32 vcc_lo, 32, v7
	v_cndmask_b32_e32 v7, v5, v7, vcc_lo
	s_delay_alu instid0(VALU_DEP_1) | instskip(SKIP_4) | instid1(VALU_DEP_1)
	v_lshlrev_b32_e32 v7, 2, v7
	s_waitcnt lgkmcnt(0)
	v_add_f32_e32 v2, v2, v3
	ds_bpermute_b32 v3, v7, v2
	v_xor_b32_e32 v7, 2, v5
	v_cmp_gt_i32_e32 vcc_lo, 32, v7
	v_cndmask_b32_e32 v7, v5, v7, vcc_lo
	s_delay_alu instid0(VALU_DEP_1) | instskip(SKIP_4) | instid1(VALU_DEP_1)
	v_lshlrev_b32_e32 v7, 2, v7
	s_waitcnt lgkmcnt(0)
	v_add_f32_e32 v2, v2, v3
	ds_bpermute_b32 v3, v7, v2
	v_xor_b32_e32 v7, 1, v5
	v_cmp_gt_i32_e32 vcc_lo, 32, v7
	v_cndmask_b32_e32 v7, v5, v7, vcc_lo
	s_delay_alu instid0(VALU_DEP_1)
	v_lshlrev_b32_e32 v7, 2, v7
	s_waitcnt lgkmcnt(0)
	v_add_f32_e32 v2, v2, v3
	ds_bpermute_b32 v3, v7, v2
	v_max_f32_e64 v7, s6, s6
	s_waitcnt lgkmcnt(0)
	v_add_f32_e32 v2, v2, v3
	s_delay_alu instid0(VALU_DEP_1) | instskip(NEXT) | instid1(VALU_DEP_1)
	v_max_f32_e32 v2, v2, v7
	v_div_scale_f32 v3, null, v2, v2, 1.0
	s_delay_alu instid0(VALU_DEP_1) | instskip(SKIP_3) | instid1(VALU_DEP_1)
	v_rcp_f32_e32 v7, v3
	s_waitcnt vmcnt(0)
	s_waitcnt_depctr 0xfff
	v_fma_f32 v8, -v3, v7, 1.0
	v_fmac_f32_e32 v7, v8, v7
	v_div_scale_f32 v8, vcc_lo, 1.0, v2, 1.0
	s_delay_alu instid0(VALU_DEP_1) | instskip(NEXT) | instid1(VALU_DEP_1)
	v_mul_f32_e32 v9, v8, v7
	v_fma_f32 v10, -v3, v9, v8
	s_delay_alu instid0(VALU_DEP_1) | instskip(NEXT) | instid1(VALU_DEP_1)
	v_fmac_f32_e32 v9, v10, v7
	v_fma_f32 v3, -v3, v9, v8
	s_delay_alu instid0(VALU_DEP_1) | instskip(NEXT) | instid1(VALU_DEP_1)
	v_div_fmas_f32 v3, v3, v7, v9
	v_div_fixup_f32 v2, v3, v2, 1.0
	s_delay_alu instid0(VALU_DEP_1)
	v_mul_f32_e32 v6, v6, v2
	v_cmp_gt_i32_e64 s0, s5, v4
	s_and_not1_b32 vcc_lo, exec_lo, s2
	s_cbranch_vccnz .LBB12_39
.LBB12_43:
	v_xor_b32_e32 v3, 16, v5
	s_waitcnt vmcnt(0)
	v_xor_b32_e32 v8, 8, v5
	v_xor_b32_e32 v9, 4, v5
	;; [unrolled: 1-line block ×4, first 2 shown]
	v_cmp_gt_i32_e32 vcc_lo, 32, v3
	v_dual_max_f32 v2, v6, v6 :: v_dual_cndmask_b32 v3, v5, v3
	s_delay_alu instid0(VALU_DEP_1) | instskip(SKIP_1) | instid1(VALU_DEP_3)
	v_max_f32_e32 v2, 0xff800000, v2
	v_cmp_gt_i32_e32 vcc_lo, 32, v8
	v_lshlrev_b32_e32 v3, 2, v3
	s_delay_alu instid0(VALU_DEP_3)
	v_cndmask_b32_e64 v2, 0xff800000, v2, s0
	ds_bpermute_b32 v7, v3, v2
	v_cndmask_b32_e32 v8, v5, v8, vcc_lo
	v_cmp_gt_i32_e32 vcc_lo, 32, v9
	v_cndmask_b32_e32 v9, v5, v9, vcc_lo
	v_cmp_gt_i32_e32 vcc_lo, 32, v10
	s_delay_alu instid0(VALU_DEP_2) | instskip(SKIP_1) | instid1(VALU_DEP_2)
	v_dual_cndmask_b32 v10, v5, v10 :: v_dual_lshlrev_b32 v9, 2, v9
	v_cmp_gt_i32_e32 vcc_lo, 32, v11
	v_dual_cndmask_b32 v5, v5, v11 :: v_dual_lshlrev_b32 v10, 2, v10
	s_waitcnt lgkmcnt(0)
	v_dual_max_f32 v7, v7, v7 :: v_dual_lshlrev_b32 v8, 2, v8
	s_delay_alu instid0(VALU_DEP_1) | instskip(SKIP_3) | instid1(VALU_DEP_1)
	v_dual_max_f32 v2, v2, v7 :: v_dual_lshlrev_b32 v5, 2, v5
	ds_bpermute_b32 v7, v8, v2
	s_waitcnt lgkmcnt(0)
	v_max_f32_e32 v7, v7, v7
	v_max_f32_e32 v2, v2, v7
	ds_bpermute_b32 v7, v9, v2
	s_waitcnt lgkmcnt(0)
	v_max_f32_e32 v7, v7, v7
	s_delay_alu instid0(VALU_DEP_1) | instskip(SKIP_3) | instid1(VALU_DEP_1)
	v_max_f32_e32 v2, v2, v7
	ds_bpermute_b32 v7, v10, v2
	s_waitcnt lgkmcnt(0)
	v_max_f32_e32 v7, v7, v7
	v_max_f32_e32 v2, v2, v7
	ds_bpermute_b32 v7, v5, v2
	s_waitcnt lgkmcnt(0)
	v_max_f32_e32 v7, v7, v7
	s_delay_alu instid0(VALU_DEP_1) | instskip(NEXT) | instid1(VALU_DEP_1)
	v_max_f32_e32 v2, v2, v7
	v_sub_f32_e32 v2, v6, v2
	s_delay_alu instid0(VALU_DEP_1) | instskip(SKIP_1) | instid1(VALU_DEP_2)
	v_mul_f32_e32 v6, 0x3fb8aa3b, v2
	v_cmp_ngt_f32_e32 vcc_lo, 0xc2ce8ed0, v2
	v_fma_f32 v7, 0x3fb8aa3b, v2, -v6
	v_rndne_f32_e32 v11, v6
	s_delay_alu instid0(VALU_DEP_2) | instskip(NEXT) | instid1(VALU_DEP_2)
	v_fmamk_f32 v7, v2, 0x32a5705f, v7
	v_sub_f32_e32 v6, v6, v11
	s_delay_alu instid0(VALU_DEP_1) | instskip(SKIP_1) | instid1(VALU_DEP_2)
	v_add_f32_e32 v6, v6, v7
	v_cvt_i32_f32_e32 v7, v11
	v_exp_f32_e32 v6, v6
	s_waitcnt_depctr 0xfff
	v_ldexp_f32 v6, v6, v7
	s_delay_alu instid0(VALU_DEP_1) | instskip(SKIP_1) | instid1(VALU_DEP_2)
	v_cndmask_b32_e32 v6, 0, v6, vcc_lo
	v_cmp_nlt_f32_e32 vcc_lo, 0x42b17218, v2
	v_cndmask_b32_e32 v2, 0x7f800000, v6, vcc_lo
	s_delay_alu instid0(VALU_DEP_1)
	v_cndmask_b32_e64 v6, 0, v2, s0
	ds_bpermute_b32 v3, v3, v6
	s_waitcnt lgkmcnt(0)
	v_add_f32_e32 v3, v6, v3
	ds_bpermute_b32 v6, v8, v3
	s_waitcnt lgkmcnt(0)
	v_add_f32_e32 v3, v3, v6
	;; [unrolled: 3-line block ×3, first 2 shown]
	ds_bpermute_b32 v6, v10, v3
	s_waitcnt lgkmcnt(0)
	v_dual_add_f32 v3, v3, v6 :: v_dual_mov_b32 v6, 0
	ds_bpermute_b32 v5, v5, v3
	s_and_saveexec_b32 s1, s0
	s_cbranch_execz .LBB12_45
; %bb.44:
	s_waitcnt lgkmcnt(0)
	v_add_f32_e32 v3, v3, v5
	s_delay_alu instid0(VALU_DEP_1) | instskip(NEXT) | instid1(VALU_DEP_1)
	v_div_scale_f32 v5, null, v3, v3, 1.0
	v_rcp_f32_e32 v6, v5
	s_waitcnt_depctr 0xfff
	v_fma_f32 v7, -v5, v6, 1.0
	s_delay_alu instid0(VALU_DEP_1) | instskip(SKIP_1) | instid1(VALU_DEP_1)
	v_fmac_f32_e32 v6, v7, v6
	v_div_scale_f32 v7, vcc_lo, 1.0, v3, 1.0
	v_mul_f32_e32 v8, v7, v6
	s_delay_alu instid0(VALU_DEP_1) | instskip(NEXT) | instid1(VALU_DEP_1)
	v_fma_f32 v9, -v5, v8, v7
	v_fmac_f32_e32 v8, v9, v6
	s_delay_alu instid0(VALU_DEP_1) | instskip(NEXT) | instid1(VALU_DEP_1)
	v_fma_f32 v5, -v5, v8, v7
	v_div_fmas_f32 v5, v5, v6, v8
	s_delay_alu instid0(VALU_DEP_1) | instskip(NEXT) | instid1(VALU_DEP_1)
	v_div_fixup_f32 v3, v5, v3, 1.0
	v_mul_f32_e32 v6, v2, v3
.LBB12_45:
	s_or_b32 exec_lo, exec_lo, s1
	v_cmp_gt_i32_e32 vcc_lo, s5, v4
	s_and_b32 exec_lo, exec_lo, vcc_lo
	s_cbranch_execnz .LBB12_40
	s_branch .LBB12_41
	.section	.rodata,"a",@progbits
	.p2align	6, 0x0
	.amdhsa_kernel _Z13topk_moe_cudaILi2ELb0EEvPKfPfPiS2_iiff15topk_moe_config
		.amdhsa_group_segment_fixed_size 0
		.amdhsa_private_segment_fixed_size 0
		.amdhsa_kernarg_size 312
		.amdhsa_user_sgpr_count 15
		.amdhsa_user_sgpr_dispatch_ptr 0
		.amdhsa_user_sgpr_queue_ptr 0
		.amdhsa_user_sgpr_kernarg_segment_ptr 1
		.amdhsa_user_sgpr_dispatch_id 0
		.amdhsa_user_sgpr_private_segment_size 0
		.amdhsa_wavefront_size32 1
		.amdhsa_uses_dynamic_stack 0
		.amdhsa_enable_private_segment 0
		.amdhsa_system_sgpr_workgroup_id_x 1
		.amdhsa_system_sgpr_workgroup_id_y 0
		.amdhsa_system_sgpr_workgroup_id_z 0
		.amdhsa_system_sgpr_workgroup_info 0
		.amdhsa_system_vgpr_workitem_id 1
		.amdhsa_next_free_vgpr 19
		.amdhsa_next_free_sgpr 16
		.amdhsa_reserve_vcc 1
		.amdhsa_float_round_mode_32 0
		.amdhsa_float_round_mode_16_64 0
		.amdhsa_float_denorm_mode_32 3
		.amdhsa_float_denorm_mode_16_64 3
		.amdhsa_dx10_clamp 1
		.amdhsa_ieee_mode 1
		.amdhsa_fp16_overflow 0
		.amdhsa_workgroup_processor_mode 1
		.amdhsa_memory_ordered 1
		.amdhsa_forward_progress 0
		.amdhsa_shared_vgpr_count 0
		.amdhsa_exception_fp_ieee_invalid_op 0
		.amdhsa_exception_fp_denorm_src 0
		.amdhsa_exception_fp_ieee_div_zero 0
		.amdhsa_exception_fp_ieee_overflow 0
		.amdhsa_exception_fp_ieee_underflow 0
		.amdhsa_exception_fp_ieee_inexact 0
		.amdhsa_exception_int_div_zero 0
	.end_amdhsa_kernel
	.section	.text._Z13topk_moe_cudaILi2ELb0EEvPKfPfPiS2_iiff15topk_moe_config,"axG",@progbits,_Z13topk_moe_cudaILi2ELb0EEvPKfPfPiS2_iiff15topk_moe_config,comdat
.Lfunc_end12:
	.size	_Z13topk_moe_cudaILi2ELb0EEvPKfPfPiS2_iiff15topk_moe_config, .Lfunc_end12-_Z13topk_moe_cudaILi2ELb0EEvPKfPfPiS2_iiff15topk_moe_config
                                        ; -- End function
	.section	.AMDGPU.csdata,"",@progbits
; Kernel info:
; codeLenInByte = 2964
; NumSgprs: 18
; NumVgprs: 19
; ScratchSize: 0
; MemoryBound: 0
; FloatMode: 240
; IeeeMode: 1
; LDSByteSize: 0 bytes/workgroup (compile time only)
; SGPRBlocks: 2
; VGPRBlocks: 2
; NumSGPRsForWavesPerEU: 18
; NumVGPRsForWavesPerEU: 19
; Occupancy: 16
; WaveLimiterHint : 0
; COMPUTE_PGM_RSRC2:SCRATCH_EN: 0
; COMPUTE_PGM_RSRC2:USER_SGPR: 15
; COMPUTE_PGM_RSRC2:TRAP_HANDLER: 0
; COMPUTE_PGM_RSRC2:TGID_X_EN: 1
; COMPUTE_PGM_RSRC2:TGID_Y_EN: 0
; COMPUTE_PGM_RSRC2:TGID_Z_EN: 0
; COMPUTE_PGM_RSRC2:TIDIG_COMP_CNT: 1
	.section	.text._Z13topk_moe_cudaILi4ELb0EEvPKfPfPiS2_iiff15topk_moe_config,"axG",@progbits,_Z13topk_moe_cudaILi4ELb0EEvPKfPfPiS2_iiff15topk_moe_config,comdat
	.protected	_Z13topk_moe_cudaILi4ELb0EEvPKfPfPiS2_iiff15topk_moe_config ; -- Begin function _Z13topk_moe_cudaILi4ELb0EEvPKfPfPiS2_iiff15topk_moe_config
	.globl	_Z13topk_moe_cudaILi4ELb0EEvPKfPfPiS2_iiff15topk_moe_config
	.p2align	8
	.type	_Z13topk_moe_cudaILi4ELb0EEvPKfPfPiS2_iiff15topk_moe_config,@function
_Z13topk_moe_cudaILi4ELb0EEvPKfPfPiS2_iiff15topk_moe_config: ; @_Z13topk_moe_cudaILi4ELb0EEvPKfPfPiS2_iiff15topk_moe_config
; %bb.0:
	s_clause 0x1
	s_load_b32 s2, s[0:1], 0x44
	s_load_b128 s[4:7], s[0:1], 0x20
	v_bfe_u32 v3, v0, 10, 10
	s_waitcnt lgkmcnt(0)
	s_lshr_b32 s2, s2, 16
	s_delay_alu instid0(VALU_DEP_1) | instid1(SALU_CYCLE_1)
	v_mad_u64_u32 v[1:2], null, s15, s2, v[3:4]
	s_mov_b32 s2, exec_lo
	s_delay_alu instid0(VALU_DEP_1)
	v_cmpx_gt_i32_e64 s4, v1
	s_cbranch_execz .LBB13_41
; %bb.1:
	v_mov_b32_e32 v2, 0
	v_mov_b32_e32 v8, 0xff800000
	s_clause 0x1
	global_load_u16 v3, v2, s[0:1] offset:48
	global_load_u8 v5, v2, s[0:1] offset:50
	s_clause 0x1
	s_load_b128 s[8:11], s[0:1], 0x0
	s_load_b64 s[0:1], s[0:1], 0x10
	s_waitcnt vmcnt(1)
	v_lshrrev_b32_e32 v2, 8, v3
	v_and_b32_e32 v3, 0xff, v3
	s_waitcnt vmcnt(0)
	v_readfirstlane_b32 s3, v5
	s_delay_alu instid0(VALU_DEP_3) | instskip(SKIP_1) | instid1(VALU_DEP_3)
	v_lshlrev_b16 v4, 8, v2
	v_lshlrev_b32_e32 v2, 2, v1
	s_lshl_b32 s3, s3, 16
	s_delay_alu instid0(VALU_DEP_2) | instskip(NEXT) | instid1(VALU_DEP_2)
	v_or_b32_e32 v6, v3, v4
	v_ashrrev_i32_e32 v3, 31, v2
	v_and_b32_e32 v4, 0x3ff, v0
	s_delay_alu instid0(VALU_DEP_3) | instskip(NEXT) | instid1(VALU_DEP_3)
	v_readfirstlane_b32 s2, v6
	v_lshlrev_b64 v[2:3], 2, v[2:3]
	s_delay_alu instid0(VALU_DEP_3) | instskip(NEXT) | instid1(VALU_DEP_3)
	v_lshlrev_b32_e32 v0, 2, v4
	s_and_b32 s2, 0xffff, s2
	s_delay_alu instid0(SALU_CYCLE_1)
	s_or_b32 s3, s2, s3
	s_mov_b32 s2, exec_lo
	v_cmpx_gt_u32_e32 4, v4
	s_cbranch_execz .LBB13_3
; %bb.2:
	s_waitcnt lgkmcnt(0)
	v_add_co_u32 v5, vcc_lo, s8, v2
	v_add_co_ci_u32_e32 v6, vcc_lo, s9, v3, vcc_lo
	s_delay_alu instid0(VALU_DEP_2) | instskip(NEXT) | instid1(VALU_DEP_2)
	v_add_co_u32 v5, vcc_lo, v5, v0
	v_add_co_ci_u32_e32 v6, vcc_lo, 0, v6, vcc_lo
	global_load_b32 v8, v[5:6], off
.LBB13_3:
	s_or_b32 exec_lo, exec_lo, s2
	s_bitcmp1_b32 s3, 16
	s_cselect_b32 s2, -1, 0
	s_delay_alu instid0(SALU_CYCLE_1)
	s_and_b32 vcc_lo, exec_lo, s2
	s_cbranch_vccnz .LBB13_9
; %bb.4:
	s_bitcmp0_b32 s3, 0
	s_mov_b32 s4, 0
	s_cbranch_scc0 .LBB13_6
; %bb.5:
	v_mbcnt_lo_u32_b32 v5, -1, 0
	s_delay_alu instid0(VALU_DEP_1)
	v_xor_b32_e32 v6, 16, v5
	v_xor_b32_e32 v10, 8, v5
	;; [unrolled: 1-line block ×5, first 2 shown]
	v_cmp_gt_i32_e32 vcc_lo, 32, v6
	s_waitcnt vmcnt(0)
	v_dual_max_f32 v7, v8, v8 :: v_dual_cndmask_b32 v6, v5, v6
	s_delay_alu instid0(VALU_DEP_1) | instskip(SKIP_1) | instid1(VALU_DEP_3)
	v_max_f32_e32 v7, 0xff800000, v7
	v_cmp_gt_i32_e32 vcc_lo, 32, v10
	v_lshlrev_b32_e32 v6, 2, v6
	ds_bpermute_b32 v9, v6, v7
	s_waitcnt lgkmcnt(0)
	v_max_f32_e32 v9, v9, v9
	v_cndmask_b32_e32 v10, v5, v10, vcc_lo
	v_cmp_gt_i32_e32 vcc_lo, 32, v11
	s_delay_alu instid0(VALU_DEP_2)
	v_dual_max_f32 v7, v7, v9 :: v_dual_lshlrev_b32 v10, 2, v10
	v_cndmask_b32_e32 v11, v5, v11, vcc_lo
	v_cmp_gt_i32_e32 vcc_lo, 32, v12
	ds_bpermute_b32 v9, v10, v7
	v_cndmask_b32_e32 v12, v5, v12, vcc_lo
	v_cmp_gt_i32_e32 vcc_lo, 32, v13
	s_delay_alu instid0(VALU_DEP_2) | instskip(SKIP_2) | instid1(VALU_DEP_1)
	v_lshlrev_b32_e32 v12, 2, v12
	v_lshlrev_b32_e32 v11, 2, v11
	v_cndmask_b32_e32 v5, v5, v13, vcc_lo
	v_lshlrev_b32_e32 v5, 2, v5
	s_waitcnt lgkmcnt(0)
	v_max_f32_e32 v9, v9, v9
	s_delay_alu instid0(VALU_DEP_1) | instskip(SKIP_3) | instid1(VALU_DEP_1)
	v_max_f32_e32 v7, v7, v9
	ds_bpermute_b32 v9, v11, v7
	s_waitcnt lgkmcnt(0)
	v_max_f32_e32 v9, v9, v9
	v_max_f32_e32 v7, v7, v9
	ds_bpermute_b32 v9, v12, v7
	s_waitcnt lgkmcnt(0)
	v_max_f32_e32 v9, v9, v9
	s_delay_alu instid0(VALU_DEP_1) | instskip(SKIP_3) | instid1(VALU_DEP_1)
	v_max_f32_e32 v7, v7, v9
	ds_bpermute_b32 v9, v5, v7
	s_waitcnt lgkmcnt(0)
	v_max_f32_e32 v9, v9, v9
	v_max_f32_e32 v7, v7, v9
	s_delay_alu instid0(VALU_DEP_1) | instskip(NEXT) | instid1(VALU_DEP_1)
	v_sub_f32_e32 v7, v8, v7
	v_mul_f32_e32 v9, 0x3fb8aa3b, v7
	v_cmp_ngt_f32_e32 vcc_lo, 0xc2ce8ed0, v7
	s_delay_alu instid0(VALU_DEP_2) | instskip(SKIP_1) | instid1(VALU_DEP_2)
	v_fma_f32 v13, 0x3fb8aa3b, v7, -v9
	v_rndne_f32_e32 v14, v9
	v_fmamk_f32 v13, v7, 0x32a5705f, v13
	s_delay_alu instid0(VALU_DEP_2) | instskip(NEXT) | instid1(VALU_DEP_1)
	v_sub_f32_e32 v9, v9, v14
	v_add_f32_e32 v9, v9, v13
	v_cvt_i32_f32_e32 v13, v14
	s_delay_alu instid0(VALU_DEP_2) | instskip(SKIP_2) | instid1(VALU_DEP_1)
	v_exp_f32_e32 v9, v9
	s_waitcnt_depctr 0xfff
	v_ldexp_f32 v9, v9, v13
	v_cndmask_b32_e32 v9, 0, v9, vcc_lo
	v_cmp_nlt_f32_e32 vcc_lo, 0x42b17218, v7
	s_delay_alu instid0(VALU_DEP_2)
	v_cndmask_b32_e32 v7, 0x7f800000, v9, vcc_lo
	ds_bpermute_b32 v6, v6, v7
	s_waitcnt lgkmcnt(0)
	v_add_f32_e32 v6, v7, v6
	ds_bpermute_b32 v9, v10, v6
	s_waitcnt lgkmcnt(0)
	v_add_f32_e32 v6, v6, v9
	;; [unrolled: 3-line block ×5, first 2 shown]
	s_delay_alu instid0(VALU_DEP_1) | instskip(NEXT) | instid1(VALU_DEP_1)
	v_div_scale_f32 v6, null, v5, v5, 1.0
	v_rcp_f32_e32 v9, v6
	s_waitcnt_depctr 0xfff
	v_fma_f32 v10, -v6, v9, 1.0
	s_delay_alu instid0(VALU_DEP_1) | instskip(SKIP_1) | instid1(VALU_DEP_1)
	v_fmac_f32_e32 v9, v10, v9
	v_div_scale_f32 v10, vcc_lo, 1.0, v5, 1.0
	v_mul_f32_e32 v11, v10, v9
	s_delay_alu instid0(VALU_DEP_1) | instskip(NEXT) | instid1(VALU_DEP_1)
	v_fma_f32 v12, -v6, v11, v10
	v_fmac_f32_e32 v11, v12, v9
	s_delay_alu instid0(VALU_DEP_1) | instskip(NEXT) | instid1(VALU_DEP_1)
	v_fma_f32 v6, -v6, v11, v10
	v_div_fmas_f32 v6, v6, v9, v11
	s_delay_alu instid0(VALU_DEP_1) | instskip(NEXT) | instid1(VALU_DEP_1)
	v_div_fixup_f32 v5, v6, v5, 1.0
	v_mul_f32_e32 v5, v7, v5
	s_and_not1_b32 vcc_lo, exec_lo, s4
	s_cbranch_vccz .LBB13_7
	s_branch .LBB13_8
.LBB13_6:
                                        ; implicit-def: $vgpr5
.LBB13_7:
	s_waitcnt vmcnt(0)
	v_mul_f32_e32 v5, 0xbfb8aa3b, v8
	v_cmp_nlt_f32_e32 vcc_lo, 0x42ce8ed0, v8
	s_delay_alu instid0(VALU_DEP_2) | instskip(SKIP_1) | instid1(VALU_DEP_2)
	v_rndne_f32_e32 v6, v5
	v_fma_f32 v7, 0xbfb8aa3b, v8, -v5
	v_sub_f32_e32 v5, v5, v6
	s_delay_alu instid0(VALU_DEP_2) | instskip(SKIP_1) | instid1(VALU_DEP_2)
	v_fmamk_f32 v7, v8, 0xb2a5705f, v7
	v_cvt_i32_f32_e32 v6, v6
	v_add_f32_e32 v5, v5, v7
	s_delay_alu instid0(VALU_DEP_1) | instskip(SKIP_2) | instid1(VALU_DEP_1)
	v_exp_f32_e32 v5, v5
	s_waitcnt_depctr 0xfff
	v_ldexp_f32 v5, v5, v6
	v_cndmask_b32_e32 v5, 0, v5, vcc_lo
	v_cmp_ngt_f32_e32 vcc_lo, 0xc2b17218, v8
	s_delay_alu instid0(VALU_DEP_2) | instskip(NEXT) | instid1(VALU_DEP_1)
	v_cndmask_b32_e32 v5, 0x7f800000, v5, vcc_lo
	v_add_f32_e32 v5, 1.0, v5
	s_delay_alu instid0(VALU_DEP_1) | instskip(NEXT) | instid1(VALU_DEP_1)
	v_div_scale_f32 v6, null, v5, v5, 1.0
	v_rcp_f32_e32 v7, v6
	s_waitcnt_depctr 0xfff
	v_fma_f32 v8, -v6, v7, 1.0
	s_delay_alu instid0(VALU_DEP_1) | instskip(SKIP_1) | instid1(VALU_DEP_1)
	v_fmac_f32_e32 v7, v8, v7
	v_div_scale_f32 v8, vcc_lo, 1.0, v5, 1.0
	v_mul_f32_e32 v9, v8, v7
	s_delay_alu instid0(VALU_DEP_1) | instskip(NEXT) | instid1(VALU_DEP_1)
	v_fma_f32 v10, -v6, v9, v8
	v_fmac_f32_e32 v9, v10, v7
	s_delay_alu instid0(VALU_DEP_1) | instskip(NEXT) | instid1(VALU_DEP_1)
	v_fma_f32 v6, -v6, v9, v8
	v_div_fmas_f32 v6, v6, v7, v9
	s_delay_alu instid0(VALU_DEP_1)
	v_div_fixup_f32 v5, v6, v5, 1.0
.LBB13_8:
	s_waitcnt vmcnt(0)
	s_delay_alu instid0(VALU_DEP_1)
	v_mov_b32_e32 v8, v5
.LBB13_9:
	s_lshr_b32 s4, s3, 8
	s_cmp_gt_i32 s5, 0
	s_waitcnt lgkmcnt(0)
	s_mov_b32 s8, 0
	s_cbranch_scc1 .LBB13_11
; %bb.10:
	s_bitcmp1_b32 s4, 0
	s_mov_b32 s9, 0
	s_cselect_b32 s3, -1, 0
	s_branch .LBB13_12
.LBB13_11:
	s_mov_b32 s8, -1
                                        ; implicit-def: $sgpr9
                                        ; implicit-def: $sgpr3
.LBB13_12:
	v_dual_mov_b32 v7, s9 :: v_dual_mov_b32 v6, s9
	v_mbcnt_lo_u32_b32 v5, -1, 0
	s_and_not1_b32 vcc_lo, exec_lo, s8
	s_cbranch_vccnz .LBB13_37
; %bb.13:
	v_add_co_u32 v2, vcc_lo, s0, v2
	v_add_co_ci_u32_e32 v3, vcc_lo, s1, v3, vcc_lo
	v_xor_b32_e32 v6, 16, v5
	s_waitcnt vmcnt(0)
	v_cmp_o_f32_e32 vcc_lo, v8, v8
	v_xor_b32_e32 v7, 8, v5
	v_xor_b32_e32 v9, 4, v5
	v_xor_b32_e32 v10, 2, v5
	v_xor_b32_e32 v11, 1, v5
	v_cndmask_b32_e32 v8, 0xff7fffff, v8, vcc_lo
	v_cmp_gt_i32_e32 vcc_lo, 32, v6
	s_bitcmp1_b32 s4, 0
	s_mov_b32 s1, 0
	s_cselect_b32 s3, -1, 0
	v_cndmask_b32_e32 v6, v5, v6, vcc_lo
	v_cmp_gt_i32_e32 vcc_lo, 32, v7
	v_cndmask_b32_e32 v7, v5, v7, vcc_lo
	v_cmp_gt_i32_e32 vcc_lo, 32, v9
	;; [unrolled: 2-line block ×4, first 2 shown]
	s_delay_alu instid0(VALU_DEP_4) | instskip(SKIP_1) | instid1(VALU_DEP_4)
	v_dual_cndmask_b32 v14, v5, v11 :: v_dual_lshlrev_b32 v11, 2, v12
	v_lshlrev_b32_e32 v9, 2, v6
	v_lshlrev_b32_e32 v12, 2, v13
	v_dual_mov_b32 v7, 0 :: v_dual_lshlrev_b32 v10, 2, v7
	s_delay_alu instid0(VALU_DEP_4)
	v_dual_mov_b32 v6, 0 :: v_dual_lshlrev_b32 v13, 2, v14
	s_branch .LBB13_15
.LBB13_14:                              ;   in Loop: Header=BB13_15 Depth=1
	s_or_b32 exec_lo, exec_lo, s0
	s_and_b32 s0, s1, 31
	v_cndmask_b32_e64 v8, v8, 0xff800000, vcc_lo
	v_cmp_eq_u32_e32 vcc_lo, s0, v4
	s_add_i32 s1, s1, 1
	s_delay_alu instid0(SALU_CYCLE_1)
	s_cmp_eq_u32 s5, s1
	v_cndmask_b32_e32 v6, v6, v14, vcc_lo
	v_add_co_u32 v2, vcc_lo, v2, 4
	v_add_co_ci_u32_e32 v3, vcc_lo, 0, v3, vcc_lo
	s_cbranch_scc1 .LBB13_37
.LBB13_15:                              ; =>This Inner Loop Header: Depth=1
	s_waitcnt lgkmcnt(0)
	ds_bpermute_b32 v17, v9, v8
	ds_bpermute_b32 v18, v9, v4
	s_mov_b32 s8, exec_lo
                                        ; implicit-def: $vgpr16
	s_waitcnt lgkmcnt(1)
	v_cmp_lt_f32_e64 s4, v8, v17
	v_cmpx_nlt_f32_e32 v8, v17
	s_cbranch_execz .LBB13_17
; %bb.16:                               ;   in Loop: Header=BB13_15 Depth=1
	v_cmp_eq_f32_e32 vcc_lo, v8, v17
	s_waitcnt lgkmcnt(0)
	v_cmp_lt_i32_e64 s0, v18, v4
	v_mov_b32_e32 v16, v8
	s_and_not1_b32 s4, s4, exec_lo
	s_delay_alu instid0(VALU_DEP_2) | instskip(NEXT) | instid1(SALU_CYCLE_1)
	s_and_b32 s0, vcc_lo, s0
	s_and_b32 s0, s0, exec_lo
	s_delay_alu instid0(SALU_CYCLE_1)
	s_or_b32 s4, s4, s0
.LBB13_17:                              ;   in Loop: Header=BB13_15 Depth=1
	s_or_b32 exec_lo, exec_lo, s8
	v_mov_b32_e32 v14, v8
	v_mov_b32_e32 v15, v4
	s_and_saveexec_b32 s0, s4
	s_cbranch_execz .LBB13_19
; %bb.18:                               ;   in Loop: Header=BB13_15 Depth=1
	s_waitcnt lgkmcnt(0)
	v_dual_mov_b32 v16, v17 :: v_dual_mov_b32 v15, v18
	v_mov_b32_e32 v14, v17
.LBB13_19:                              ;   in Loop: Header=BB13_15 Depth=1
	s_or_b32 exec_lo, exec_lo, s0
	ds_bpermute_b32 v17, v10, v16
	s_waitcnt lgkmcnt(1)
	ds_bpermute_b32 v18, v10, v15
	s_mov_b32 s8, exec_lo
	s_waitcnt lgkmcnt(1)
	v_cmp_lt_f32_e64 s4, v14, v17
	v_cmpx_nlt_f32_e32 v14, v17
	s_cbranch_execz .LBB13_21
; %bb.20:                               ;   in Loop: Header=BB13_15 Depth=1
	v_cmp_eq_f32_e32 vcc_lo, v14, v17
	s_waitcnt lgkmcnt(0)
	v_cmp_lt_i32_e64 s0, v18, v15
	s_and_not1_b32 s4, s4, exec_lo
	s_delay_alu instid0(VALU_DEP_1) | instskip(NEXT) | instid1(SALU_CYCLE_1)
	s_and_b32 s0, vcc_lo, s0
	s_and_b32 s0, s0, exec_lo
	s_delay_alu instid0(SALU_CYCLE_1)
	s_or_b32 s4, s4, s0
.LBB13_21:                              ;   in Loop: Header=BB13_15 Depth=1
	s_or_b32 exec_lo, exec_lo, s8
	s_delay_alu instid0(VALU_DEP_2)
	s_and_saveexec_b32 s0, s4
	s_cbranch_execz .LBB13_23
; %bb.22:                               ;   in Loop: Header=BB13_15 Depth=1
	s_waitcnt lgkmcnt(0)
	v_dual_mov_b32 v16, v17 :: v_dual_mov_b32 v15, v18
	v_mov_b32_e32 v14, v17
.LBB13_23:                              ;   in Loop: Header=BB13_15 Depth=1
	s_or_b32 exec_lo, exec_lo, s0
	ds_bpermute_b32 v17, v11, v16
	s_waitcnt lgkmcnt(1)
	ds_bpermute_b32 v18, v11, v15
	s_mov_b32 s8, exec_lo
	s_waitcnt lgkmcnt(1)
	v_cmp_lt_f32_e64 s4, v14, v17
	v_cmpx_nlt_f32_e32 v14, v17
	s_cbranch_execz .LBB13_25
; %bb.24:                               ;   in Loop: Header=BB13_15 Depth=1
	v_cmp_eq_f32_e32 vcc_lo, v14, v17
	s_waitcnt lgkmcnt(0)
	v_cmp_lt_i32_e64 s0, v18, v15
	s_and_not1_b32 s4, s4, exec_lo
	s_delay_alu instid0(VALU_DEP_1) | instskip(NEXT) | instid1(SALU_CYCLE_1)
	s_and_b32 s0, vcc_lo, s0
	s_and_b32 s0, s0, exec_lo
	s_delay_alu instid0(SALU_CYCLE_1)
	s_or_b32 s4, s4, s0
.LBB13_25:                              ;   in Loop: Header=BB13_15 Depth=1
	s_or_b32 exec_lo, exec_lo, s8
	s_delay_alu instid0(VALU_DEP_2)
	;; [unrolled: 29-line block ×3, first 2 shown]
	s_and_saveexec_b32 s0, s4
	s_cbranch_execz .LBB13_31
; %bb.30:                               ;   in Loop: Header=BB13_15 Depth=1
	s_waitcnt lgkmcnt(0)
	v_dual_mov_b32 v16, v17 :: v_dual_mov_b32 v15, v18
	v_mov_b32_e32 v14, v17
.LBB13_31:                              ;   in Loop: Header=BB13_15 Depth=1
	s_or_b32 exec_lo, exec_lo, s0
	ds_bpermute_b32 v16, v13, v16
	ds_bpermute_b32 v17, v13, v15
	s_mov_b32 s8, exec_lo
	s_waitcnt lgkmcnt(1)
	v_cmp_lt_f32_e64 s4, v14, v16
	v_cmpx_nlt_f32_e32 v14, v16
	s_cbranch_execz .LBB13_33
; %bb.32:                               ;   in Loop: Header=BB13_15 Depth=1
	v_cmp_eq_f32_e32 vcc_lo, v14, v16
	s_waitcnt lgkmcnt(0)
	v_cmp_lt_i32_e64 s0, v17, v15
	s_and_not1_b32 s4, s4, exec_lo
	s_delay_alu instid0(VALU_DEP_1) | instskip(NEXT) | instid1(SALU_CYCLE_1)
	s_and_b32 s0, vcc_lo, s0
	s_and_b32 s0, s0, exec_lo
	s_delay_alu instid0(SALU_CYCLE_1)
	s_or_b32 s4, s4, s0
.LBB13_33:                              ;   in Loop: Header=BB13_15 Depth=1
	s_or_b32 exec_lo, exec_lo, s8
	s_delay_alu instid0(VALU_DEP_2)
	s_and_saveexec_b32 s0, s4
	s_cbranch_execz .LBB13_35
; %bb.34:                               ;   in Loop: Header=BB13_15 Depth=1
	s_waitcnt lgkmcnt(0)
	v_dual_mov_b32 v14, v16 :: v_dual_mov_b32 v15, v17
.LBB13_35:                              ;   in Loop: Header=BB13_15 Depth=1
	s_or_b32 exec_lo, exec_lo, s0
	s_delay_alu instid0(VALU_DEP_1) | instskip(NEXT) | instid1(VALU_DEP_1)
	v_and_b32_e32 v16, 31, v15
	v_cmp_eq_u32_e32 vcc_lo, v16, v4
	s_and_saveexec_b32 s0, vcc_lo
	s_cbranch_execz .LBB13_14
; %bb.36:                               ;   in Loop: Header=BB13_15 Depth=1
	v_add_f32_e32 v16, v7, v14
	global_store_b32 v[2:3], v15, off
	v_cndmask_b32_e64 v7, v7, v16, s3
	s_branch .LBB13_14
.LBB13_37:
	s_and_b32 vcc_lo, exec_lo, s3
	s_cbranch_vccnz .LBB13_42
; %bb.38:
	v_cmp_gt_i32_e64 s0, s5, v4
	s_and_not1_b32 vcc_lo, exec_lo, s2
	s_cbranch_vccz .LBB13_43
.LBB13_39:
	v_cmp_gt_i32_e32 vcc_lo, s5, v4
	s_and_b32 exec_lo, exec_lo, vcc_lo
	s_cbranch_execz .LBB13_41
.LBB13_40:
	v_mul_lo_u32 v1, v1, s5
	s_delay_alu instid0(VALU_DEP_1) | instskip(NEXT) | instid1(VALU_DEP_1)
	v_ashrrev_i32_e32 v2, 31, v1
	v_lshlrev_b64 v[1:2], 2, v[1:2]
	s_delay_alu instid0(VALU_DEP_1) | instskip(NEXT) | instid1(VALU_DEP_2)
	v_add_co_u32 v1, vcc_lo, s10, v1
	v_add_co_ci_u32_e32 v2, vcc_lo, s11, v2, vcc_lo
	s_delay_alu instid0(VALU_DEP_2) | instskip(NEXT) | instid1(VALU_DEP_2)
	v_add_co_u32 v0, vcc_lo, v1, v0
	v_add_co_ci_u32_e32 v1, vcc_lo, 0, v2, vcc_lo
	v_mul_f32_e32 v2, s7, v6
	global_store_b32 v[0:1], v2, off
.LBB13_41:
	s_nop 0
	s_sendmsg sendmsg(MSG_DEALLOC_VGPRS)
	s_endpgm
.LBB13_42:
	v_xor_b32_e32 v2, 16, v5
	v_xor_b32_e32 v3, 8, v5
	s_delay_alu instid0(VALU_DEP_2) | instskip(SKIP_1) | instid1(VALU_DEP_3)
	v_cmp_gt_i32_e32 vcc_lo, 32, v2
	v_cndmask_b32_e32 v2, v5, v2, vcc_lo
	v_cmp_gt_i32_e32 vcc_lo, 32, v3
	v_cndmask_b32_e32 v3, v5, v3, vcc_lo
	s_delay_alu instid0(VALU_DEP_1) | instskip(NEXT) | instid1(VALU_DEP_4)
	v_lshlrev_b32_e32 v3, 2, v3
	v_lshlrev_b32_e32 v2, 2, v2
	ds_bpermute_b32 v2, v2, v7
	s_waitcnt lgkmcnt(0)
	v_add_f32_e32 v2, v7, v2
	v_xor_b32_e32 v7, 4, v5
	ds_bpermute_b32 v3, v3, v2
	v_cmp_gt_i32_e32 vcc_lo, 32, v7
	v_cndmask_b32_e32 v7, v5, v7, vcc_lo
	s_delay_alu instid0(VALU_DEP_1) | instskip(SKIP_4) | instid1(VALU_DEP_1)
	v_lshlrev_b32_e32 v7, 2, v7
	s_waitcnt lgkmcnt(0)
	v_add_f32_e32 v2, v2, v3
	ds_bpermute_b32 v3, v7, v2
	v_xor_b32_e32 v7, 2, v5
	v_cmp_gt_i32_e32 vcc_lo, 32, v7
	v_cndmask_b32_e32 v7, v5, v7, vcc_lo
	s_delay_alu instid0(VALU_DEP_1) | instskip(SKIP_4) | instid1(VALU_DEP_1)
	v_lshlrev_b32_e32 v7, 2, v7
	s_waitcnt lgkmcnt(0)
	v_add_f32_e32 v2, v2, v3
	ds_bpermute_b32 v3, v7, v2
	v_xor_b32_e32 v7, 1, v5
	v_cmp_gt_i32_e32 vcc_lo, 32, v7
	v_cndmask_b32_e32 v7, v5, v7, vcc_lo
	s_delay_alu instid0(VALU_DEP_1)
	v_lshlrev_b32_e32 v7, 2, v7
	s_waitcnt lgkmcnt(0)
	v_add_f32_e32 v2, v2, v3
	ds_bpermute_b32 v3, v7, v2
	v_max_f32_e64 v7, s6, s6
	s_waitcnt lgkmcnt(0)
	v_add_f32_e32 v2, v2, v3
	s_delay_alu instid0(VALU_DEP_1) | instskip(NEXT) | instid1(VALU_DEP_1)
	v_max_f32_e32 v2, v2, v7
	v_div_scale_f32 v3, null, v2, v2, 1.0
	s_delay_alu instid0(VALU_DEP_1) | instskip(SKIP_3) | instid1(VALU_DEP_1)
	v_rcp_f32_e32 v7, v3
	s_waitcnt vmcnt(0)
	s_waitcnt_depctr 0xfff
	v_fma_f32 v8, -v3, v7, 1.0
	v_fmac_f32_e32 v7, v8, v7
	v_div_scale_f32 v8, vcc_lo, 1.0, v2, 1.0
	s_delay_alu instid0(VALU_DEP_1) | instskip(NEXT) | instid1(VALU_DEP_1)
	v_mul_f32_e32 v9, v8, v7
	v_fma_f32 v10, -v3, v9, v8
	s_delay_alu instid0(VALU_DEP_1) | instskip(NEXT) | instid1(VALU_DEP_1)
	v_fmac_f32_e32 v9, v10, v7
	v_fma_f32 v3, -v3, v9, v8
	s_delay_alu instid0(VALU_DEP_1) | instskip(NEXT) | instid1(VALU_DEP_1)
	v_div_fmas_f32 v3, v3, v7, v9
	v_div_fixup_f32 v2, v3, v2, 1.0
	s_delay_alu instid0(VALU_DEP_1)
	v_mul_f32_e32 v6, v6, v2
	v_cmp_gt_i32_e64 s0, s5, v4
	s_and_not1_b32 vcc_lo, exec_lo, s2
	s_cbranch_vccnz .LBB13_39
.LBB13_43:
	v_xor_b32_e32 v3, 16, v5
	s_waitcnt vmcnt(0)
	v_xor_b32_e32 v8, 8, v5
	v_xor_b32_e32 v9, 4, v5
	;; [unrolled: 1-line block ×4, first 2 shown]
	v_cmp_gt_i32_e32 vcc_lo, 32, v3
	v_dual_max_f32 v2, v6, v6 :: v_dual_cndmask_b32 v3, v5, v3
	s_delay_alu instid0(VALU_DEP_1) | instskip(SKIP_1) | instid1(VALU_DEP_3)
	v_max_f32_e32 v2, 0xff800000, v2
	v_cmp_gt_i32_e32 vcc_lo, 32, v8
	v_lshlrev_b32_e32 v3, 2, v3
	s_delay_alu instid0(VALU_DEP_3)
	v_cndmask_b32_e64 v2, 0xff800000, v2, s0
	ds_bpermute_b32 v7, v3, v2
	v_cndmask_b32_e32 v8, v5, v8, vcc_lo
	v_cmp_gt_i32_e32 vcc_lo, 32, v9
	v_cndmask_b32_e32 v9, v5, v9, vcc_lo
	v_cmp_gt_i32_e32 vcc_lo, 32, v10
	s_delay_alu instid0(VALU_DEP_2) | instskip(SKIP_1) | instid1(VALU_DEP_2)
	v_dual_cndmask_b32 v10, v5, v10 :: v_dual_lshlrev_b32 v9, 2, v9
	v_cmp_gt_i32_e32 vcc_lo, 32, v11
	v_dual_cndmask_b32 v5, v5, v11 :: v_dual_lshlrev_b32 v10, 2, v10
	s_waitcnt lgkmcnt(0)
	v_dual_max_f32 v7, v7, v7 :: v_dual_lshlrev_b32 v8, 2, v8
	s_delay_alu instid0(VALU_DEP_1) | instskip(SKIP_3) | instid1(VALU_DEP_1)
	v_dual_max_f32 v2, v2, v7 :: v_dual_lshlrev_b32 v5, 2, v5
	ds_bpermute_b32 v7, v8, v2
	s_waitcnt lgkmcnt(0)
	v_max_f32_e32 v7, v7, v7
	v_max_f32_e32 v2, v2, v7
	ds_bpermute_b32 v7, v9, v2
	s_waitcnt lgkmcnt(0)
	v_max_f32_e32 v7, v7, v7
	s_delay_alu instid0(VALU_DEP_1) | instskip(SKIP_3) | instid1(VALU_DEP_1)
	v_max_f32_e32 v2, v2, v7
	ds_bpermute_b32 v7, v10, v2
	s_waitcnt lgkmcnt(0)
	v_max_f32_e32 v7, v7, v7
	v_max_f32_e32 v2, v2, v7
	ds_bpermute_b32 v7, v5, v2
	s_waitcnt lgkmcnt(0)
	v_max_f32_e32 v7, v7, v7
	s_delay_alu instid0(VALU_DEP_1) | instskip(NEXT) | instid1(VALU_DEP_1)
	v_max_f32_e32 v2, v2, v7
	v_sub_f32_e32 v2, v6, v2
	s_delay_alu instid0(VALU_DEP_1) | instskip(SKIP_1) | instid1(VALU_DEP_2)
	v_mul_f32_e32 v6, 0x3fb8aa3b, v2
	v_cmp_ngt_f32_e32 vcc_lo, 0xc2ce8ed0, v2
	v_fma_f32 v7, 0x3fb8aa3b, v2, -v6
	v_rndne_f32_e32 v11, v6
	s_delay_alu instid0(VALU_DEP_2) | instskip(NEXT) | instid1(VALU_DEP_2)
	v_fmamk_f32 v7, v2, 0x32a5705f, v7
	v_sub_f32_e32 v6, v6, v11
	s_delay_alu instid0(VALU_DEP_1) | instskip(SKIP_1) | instid1(VALU_DEP_2)
	v_add_f32_e32 v6, v6, v7
	v_cvt_i32_f32_e32 v7, v11
	v_exp_f32_e32 v6, v6
	s_waitcnt_depctr 0xfff
	v_ldexp_f32 v6, v6, v7
	s_delay_alu instid0(VALU_DEP_1) | instskip(SKIP_1) | instid1(VALU_DEP_2)
	v_cndmask_b32_e32 v6, 0, v6, vcc_lo
	v_cmp_nlt_f32_e32 vcc_lo, 0x42b17218, v2
	v_cndmask_b32_e32 v2, 0x7f800000, v6, vcc_lo
	s_delay_alu instid0(VALU_DEP_1)
	v_cndmask_b32_e64 v6, 0, v2, s0
	ds_bpermute_b32 v3, v3, v6
	s_waitcnt lgkmcnt(0)
	v_add_f32_e32 v3, v6, v3
	ds_bpermute_b32 v6, v8, v3
	s_waitcnt lgkmcnt(0)
	v_add_f32_e32 v3, v3, v6
	;; [unrolled: 3-line block ×3, first 2 shown]
	ds_bpermute_b32 v6, v10, v3
	s_waitcnt lgkmcnt(0)
	v_dual_add_f32 v3, v3, v6 :: v_dual_mov_b32 v6, 0
	ds_bpermute_b32 v5, v5, v3
	s_and_saveexec_b32 s1, s0
	s_cbranch_execz .LBB13_45
; %bb.44:
	s_waitcnt lgkmcnt(0)
	v_add_f32_e32 v3, v3, v5
	s_delay_alu instid0(VALU_DEP_1) | instskip(NEXT) | instid1(VALU_DEP_1)
	v_div_scale_f32 v5, null, v3, v3, 1.0
	v_rcp_f32_e32 v6, v5
	s_waitcnt_depctr 0xfff
	v_fma_f32 v7, -v5, v6, 1.0
	s_delay_alu instid0(VALU_DEP_1) | instskip(SKIP_1) | instid1(VALU_DEP_1)
	v_fmac_f32_e32 v6, v7, v6
	v_div_scale_f32 v7, vcc_lo, 1.0, v3, 1.0
	v_mul_f32_e32 v8, v7, v6
	s_delay_alu instid0(VALU_DEP_1) | instskip(NEXT) | instid1(VALU_DEP_1)
	v_fma_f32 v9, -v5, v8, v7
	v_fmac_f32_e32 v8, v9, v6
	s_delay_alu instid0(VALU_DEP_1) | instskip(NEXT) | instid1(VALU_DEP_1)
	v_fma_f32 v5, -v5, v8, v7
	v_div_fmas_f32 v5, v5, v6, v8
	s_delay_alu instid0(VALU_DEP_1) | instskip(NEXT) | instid1(VALU_DEP_1)
	v_div_fixup_f32 v3, v5, v3, 1.0
	v_mul_f32_e32 v6, v2, v3
.LBB13_45:
	s_or_b32 exec_lo, exec_lo, s1
	v_cmp_gt_i32_e32 vcc_lo, s5, v4
	s_and_b32 exec_lo, exec_lo, vcc_lo
	s_cbranch_execnz .LBB13_40
	s_branch .LBB13_41
	.section	.rodata,"a",@progbits
	.p2align	6, 0x0
	.amdhsa_kernel _Z13topk_moe_cudaILi4ELb0EEvPKfPfPiS2_iiff15topk_moe_config
		.amdhsa_group_segment_fixed_size 0
		.amdhsa_private_segment_fixed_size 0
		.amdhsa_kernarg_size 312
		.amdhsa_user_sgpr_count 15
		.amdhsa_user_sgpr_dispatch_ptr 0
		.amdhsa_user_sgpr_queue_ptr 0
		.amdhsa_user_sgpr_kernarg_segment_ptr 1
		.amdhsa_user_sgpr_dispatch_id 0
		.amdhsa_user_sgpr_private_segment_size 0
		.amdhsa_wavefront_size32 1
		.amdhsa_uses_dynamic_stack 0
		.amdhsa_enable_private_segment 0
		.amdhsa_system_sgpr_workgroup_id_x 1
		.amdhsa_system_sgpr_workgroup_id_y 0
		.amdhsa_system_sgpr_workgroup_id_z 0
		.amdhsa_system_sgpr_workgroup_info 0
		.amdhsa_system_vgpr_workitem_id 1
		.amdhsa_next_free_vgpr 19
		.amdhsa_next_free_sgpr 16
		.amdhsa_reserve_vcc 1
		.amdhsa_float_round_mode_32 0
		.amdhsa_float_round_mode_16_64 0
		.amdhsa_float_denorm_mode_32 3
		.amdhsa_float_denorm_mode_16_64 3
		.amdhsa_dx10_clamp 1
		.amdhsa_ieee_mode 1
		.amdhsa_fp16_overflow 0
		.amdhsa_workgroup_processor_mode 1
		.amdhsa_memory_ordered 1
		.amdhsa_forward_progress 0
		.amdhsa_shared_vgpr_count 0
		.amdhsa_exception_fp_ieee_invalid_op 0
		.amdhsa_exception_fp_denorm_src 0
		.amdhsa_exception_fp_ieee_div_zero 0
		.amdhsa_exception_fp_ieee_overflow 0
		.amdhsa_exception_fp_ieee_underflow 0
		.amdhsa_exception_fp_ieee_inexact 0
		.amdhsa_exception_int_div_zero 0
	.end_amdhsa_kernel
	.section	.text._Z13topk_moe_cudaILi4ELb0EEvPKfPfPiS2_iiff15topk_moe_config,"axG",@progbits,_Z13topk_moe_cudaILi4ELb0EEvPKfPfPiS2_iiff15topk_moe_config,comdat
.Lfunc_end13:
	.size	_Z13topk_moe_cudaILi4ELb0EEvPKfPfPiS2_iiff15topk_moe_config, .Lfunc_end13-_Z13topk_moe_cudaILi4ELb0EEvPKfPfPiS2_iiff15topk_moe_config
                                        ; -- End function
	.section	.AMDGPU.csdata,"",@progbits
; Kernel info:
; codeLenInByte = 2964
; NumSgprs: 18
; NumVgprs: 19
; ScratchSize: 0
; MemoryBound: 0
; FloatMode: 240
; IeeeMode: 1
; LDSByteSize: 0 bytes/workgroup (compile time only)
; SGPRBlocks: 2
; VGPRBlocks: 2
; NumSGPRsForWavesPerEU: 18
; NumVGPRsForWavesPerEU: 19
; Occupancy: 16
; WaveLimiterHint : 0
; COMPUTE_PGM_RSRC2:SCRATCH_EN: 0
; COMPUTE_PGM_RSRC2:USER_SGPR: 15
; COMPUTE_PGM_RSRC2:TRAP_HANDLER: 0
; COMPUTE_PGM_RSRC2:TGID_X_EN: 1
; COMPUTE_PGM_RSRC2:TGID_Y_EN: 0
; COMPUTE_PGM_RSRC2:TGID_Z_EN: 0
; COMPUTE_PGM_RSRC2:TIDIG_COMP_CNT: 1
	.section	.text._Z13topk_moe_cudaILi8ELb0EEvPKfPfPiS2_iiff15topk_moe_config,"axG",@progbits,_Z13topk_moe_cudaILi8ELb0EEvPKfPfPiS2_iiff15topk_moe_config,comdat
	.protected	_Z13topk_moe_cudaILi8ELb0EEvPKfPfPiS2_iiff15topk_moe_config ; -- Begin function _Z13topk_moe_cudaILi8ELb0EEvPKfPfPiS2_iiff15topk_moe_config
	.globl	_Z13topk_moe_cudaILi8ELb0EEvPKfPfPiS2_iiff15topk_moe_config
	.p2align	8
	.type	_Z13topk_moe_cudaILi8ELb0EEvPKfPfPiS2_iiff15topk_moe_config,@function
_Z13topk_moe_cudaILi8ELb0EEvPKfPfPiS2_iiff15topk_moe_config: ; @_Z13topk_moe_cudaILi8ELb0EEvPKfPfPiS2_iiff15topk_moe_config
; %bb.0:
	s_clause 0x1
	s_load_b32 s2, s[0:1], 0x44
	s_load_b128 s[4:7], s[0:1], 0x20
	v_bfe_u32 v3, v0, 10, 10
	s_waitcnt lgkmcnt(0)
	s_lshr_b32 s2, s2, 16
	s_delay_alu instid0(VALU_DEP_1) | instid1(SALU_CYCLE_1)
	v_mad_u64_u32 v[1:2], null, s15, s2, v[3:4]
	s_mov_b32 s2, exec_lo
	s_delay_alu instid0(VALU_DEP_1)
	v_cmpx_gt_i32_e64 s4, v1
	s_cbranch_execz .LBB14_41
; %bb.1:
	v_mov_b32_e32 v2, 0
	v_mov_b32_e32 v8, 0xff800000
	s_clause 0x1
	global_load_u16 v3, v2, s[0:1] offset:48
	global_load_u8 v5, v2, s[0:1] offset:50
	s_clause 0x1
	s_load_b128 s[8:11], s[0:1], 0x0
	s_load_b64 s[0:1], s[0:1], 0x10
	s_waitcnt vmcnt(1)
	v_lshrrev_b32_e32 v2, 8, v3
	v_and_b32_e32 v3, 0xff, v3
	s_waitcnt vmcnt(0)
	v_readfirstlane_b32 s3, v5
	s_delay_alu instid0(VALU_DEP_3) | instskip(SKIP_1) | instid1(VALU_DEP_3)
	v_lshlrev_b16 v4, 8, v2
	v_lshlrev_b32_e32 v2, 3, v1
	s_lshl_b32 s3, s3, 16
	s_delay_alu instid0(VALU_DEP_2) | instskip(NEXT) | instid1(VALU_DEP_2)
	v_or_b32_e32 v6, v3, v4
	v_ashrrev_i32_e32 v3, 31, v2
	v_and_b32_e32 v4, 0x3ff, v0
	s_delay_alu instid0(VALU_DEP_3) | instskip(NEXT) | instid1(VALU_DEP_3)
	v_readfirstlane_b32 s2, v6
	v_lshlrev_b64 v[2:3], 2, v[2:3]
	s_delay_alu instid0(VALU_DEP_3) | instskip(NEXT) | instid1(VALU_DEP_3)
	v_lshlrev_b32_e32 v0, 2, v4
	s_and_b32 s2, 0xffff, s2
	s_delay_alu instid0(SALU_CYCLE_1)
	s_or_b32 s3, s2, s3
	s_mov_b32 s2, exec_lo
	v_cmpx_gt_u32_e32 8, v4
	s_cbranch_execz .LBB14_3
; %bb.2:
	s_waitcnt lgkmcnt(0)
	v_add_co_u32 v5, vcc_lo, s8, v2
	v_add_co_ci_u32_e32 v6, vcc_lo, s9, v3, vcc_lo
	s_delay_alu instid0(VALU_DEP_2) | instskip(NEXT) | instid1(VALU_DEP_2)
	v_add_co_u32 v5, vcc_lo, v5, v0
	v_add_co_ci_u32_e32 v6, vcc_lo, 0, v6, vcc_lo
	global_load_b32 v8, v[5:6], off
.LBB14_3:
	s_or_b32 exec_lo, exec_lo, s2
	s_bitcmp1_b32 s3, 16
	s_cselect_b32 s2, -1, 0
	s_delay_alu instid0(SALU_CYCLE_1)
	s_and_b32 vcc_lo, exec_lo, s2
	s_cbranch_vccnz .LBB14_9
; %bb.4:
	s_bitcmp0_b32 s3, 0
	s_mov_b32 s4, 0
	s_cbranch_scc0 .LBB14_6
; %bb.5:
	v_mbcnt_lo_u32_b32 v5, -1, 0
	s_delay_alu instid0(VALU_DEP_1)
	v_xor_b32_e32 v6, 16, v5
	v_xor_b32_e32 v10, 8, v5
	;; [unrolled: 1-line block ×5, first 2 shown]
	v_cmp_gt_i32_e32 vcc_lo, 32, v6
	s_waitcnt vmcnt(0)
	v_dual_max_f32 v7, v8, v8 :: v_dual_cndmask_b32 v6, v5, v6
	s_delay_alu instid0(VALU_DEP_1) | instskip(SKIP_1) | instid1(VALU_DEP_3)
	v_max_f32_e32 v7, 0xff800000, v7
	v_cmp_gt_i32_e32 vcc_lo, 32, v10
	v_lshlrev_b32_e32 v6, 2, v6
	ds_bpermute_b32 v9, v6, v7
	s_waitcnt lgkmcnt(0)
	v_max_f32_e32 v9, v9, v9
	v_cndmask_b32_e32 v10, v5, v10, vcc_lo
	v_cmp_gt_i32_e32 vcc_lo, 32, v11
	s_delay_alu instid0(VALU_DEP_2)
	v_dual_max_f32 v7, v7, v9 :: v_dual_lshlrev_b32 v10, 2, v10
	v_cndmask_b32_e32 v11, v5, v11, vcc_lo
	v_cmp_gt_i32_e32 vcc_lo, 32, v12
	ds_bpermute_b32 v9, v10, v7
	v_cndmask_b32_e32 v12, v5, v12, vcc_lo
	v_cmp_gt_i32_e32 vcc_lo, 32, v13
	s_delay_alu instid0(VALU_DEP_2) | instskip(SKIP_2) | instid1(VALU_DEP_1)
	v_lshlrev_b32_e32 v12, 2, v12
	v_lshlrev_b32_e32 v11, 2, v11
	v_cndmask_b32_e32 v5, v5, v13, vcc_lo
	v_lshlrev_b32_e32 v5, 2, v5
	s_waitcnt lgkmcnt(0)
	v_max_f32_e32 v9, v9, v9
	s_delay_alu instid0(VALU_DEP_1) | instskip(SKIP_3) | instid1(VALU_DEP_1)
	v_max_f32_e32 v7, v7, v9
	ds_bpermute_b32 v9, v11, v7
	s_waitcnt lgkmcnt(0)
	v_max_f32_e32 v9, v9, v9
	v_max_f32_e32 v7, v7, v9
	ds_bpermute_b32 v9, v12, v7
	s_waitcnt lgkmcnt(0)
	v_max_f32_e32 v9, v9, v9
	s_delay_alu instid0(VALU_DEP_1) | instskip(SKIP_3) | instid1(VALU_DEP_1)
	v_max_f32_e32 v7, v7, v9
	ds_bpermute_b32 v9, v5, v7
	s_waitcnt lgkmcnt(0)
	v_max_f32_e32 v9, v9, v9
	v_max_f32_e32 v7, v7, v9
	s_delay_alu instid0(VALU_DEP_1) | instskip(NEXT) | instid1(VALU_DEP_1)
	v_sub_f32_e32 v7, v8, v7
	v_mul_f32_e32 v9, 0x3fb8aa3b, v7
	v_cmp_ngt_f32_e32 vcc_lo, 0xc2ce8ed0, v7
	s_delay_alu instid0(VALU_DEP_2) | instskip(SKIP_1) | instid1(VALU_DEP_2)
	v_fma_f32 v13, 0x3fb8aa3b, v7, -v9
	v_rndne_f32_e32 v14, v9
	v_fmamk_f32 v13, v7, 0x32a5705f, v13
	s_delay_alu instid0(VALU_DEP_2) | instskip(NEXT) | instid1(VALU_DEP_1)
	v_sub_f32_e32 v9, v9, v14
	v_add_f32_e32 v9, v9, v13
	v_cvt_i32_f32_e32 v13, v14
	s_delay_alu instid0(VALU_DEP_2) | instskip(SKIP_2) | instid1(VALU_DEP_1)
	v_exp_f32_e32 v9, v9
	s_waitcnt_depctr 0xfff
	v_ldexp_f32 v9, v9, v13
	v_cndmask_b32_e32 v9, 0, v9, vcc_lo
	v_cmp_nlt_f32_e32 vcc_lo, 0x42b17218, v7
	s_delay_alu instid0(VALU_DEP_2)
	v_cndmask_b32_e32 v7, 0x7f800000, v9, vcc_lo
	ds_bpermute_b32 v6, v6, v7
	s_waitcnt lgkmcnt(0)
	v_add_f32_e32 v6, v7, v6
	ds_bpermute_b32 v9, v10, v6
	s_waitcnt lgkmcnt(0)
	v_add_f32_e32 v6, v6, v9
	;; [unrolled: 3-line block ×5, first 2 shown]
	s_delay_alu instid0(VALU_DEP_1) | instskip(NEXT) | instid1(VALU_DEP_1)
	v_div_scale_f32 v6, null, v5, v5, 1.0
	v_rcp_f32_e32 v9, v6
	s_waitcnt_depctr 0xfff
	v_fma_f32 v10, -v6, v9, 1.0
	s_delay_alu instid0(VALU_DEP_1) | instskip(SKIP_1) | instid1(VALU_DEP_1)
	v_fmac_f32_e32 v9, v10, v9
	v_div_scale_f32 v10, vcc_lo, 1.0, v5, 1.0
	v_mul_f32_e32 v11, v10, v9
	s_delay_alu instid0(VALU_DEP_1) | instskip(NEXT) | instid1(VALU_DEP_1)
	v_fma_f32 v12, -v6, v11, v10
	v_fmac_f32_e32 v11, v12, v9
	s_delay_alu instid0(VALU_DEP_1) | instskip(NEXT) | instid1(VALU_DEP_1)
	v_fma_f32 v6, -v6, v11, v10
	v_div_fmas_f32 v6, v6, v9, v11
	s_delay_alu instid0(VALU_DEP_1) | instskip(NEXT) | instid1(VALU_DEP_1)
	v_div_fixup_f32 v5, v6, v5, 1.0
	v_mul_f32_e32 v5, v7, v5
	s_and_not1_b32 vcc_lo, exec_lo, s4
	s_cbranch_vccz .LBB14_7
	s_branch .LBB14_8
.LBB14_6:
                                        ; implicit-def: $vgpr5
.LBB14_7:
	s_waitcnt vmcnt(0)
	v_mul_f32_e32 v5, 0xbfb8aa3b, v8
	v_cmp_nlt_f32_e32 vcc_lo, 0x42ce8ed0, v8
	s_delay_alu instid0(VALU_DEP_2) | instskip(SKIP_1) | instid1(VALU_DEP_2)
	v_rndne_f32_e32 v6, v5
	v_fma_f32 v7, 0xbfb8aa3b, v8, -v5
	v_sub_f32_e32 v5, v5, v6
	s_delay_alu instid0(VALU_DEP_2) | instskip(SKIP_1) | instid1(VALU_DEP_2)
	v_fmamk_f32 v7, v8, 0xb2a5705f, v7
	v_cvt_i32_f32_e32 v6, v6
	v_add_f32_e32 v5, v5, v7
	s_delay_alu instid0(VALU_DEP_1) | instskip(SKIP_2) | instid1(VALU_DEP_1)
	v_exp_f32_e32 v5, v5
	s_waitcnt_depctr 0xfff
	v_ldexp_f32 v5, v5, v6
	v_cndmask_b32_e32 v5, 0, v5, vcc_lo
	v_cmp_ngt_f32_e32 vcc_lo, 0xc2b17218, v8
	s_delay_alu instid0(VALU_DEP_2) | instskip(NEXT) | instid1(VALU_DEP_1)
	v_cndmask_b32_e32 v5, 0x7f800000, v5, vcc_lo
	v_add_f32_e32 v5, 1.0, v5
	s_delay_alu instid0(VALU_DEP_1) | instskip(NEXT) | instid1(VALU_DEP_1)
	v_div_scale_f32 v6, null, v5, v5, 1.0
	v_rcp_f32_e32 v7, v6
	s_waitcnt_depctr 0xfff
	v_fma_f32 v8, -v6, v7, 1.0
	s_delay_alu instid0(VALU_DEP_1) | instskip(SKIP_1) | instid1(VALU_DEP_1)
	v_fmac_f32_e32 v7, v8, v7
	v_div_scale_f32 v8, vcc_lo, 1.0, v5, 1.0
	v_mul_f32_e32 v9, v8, v7
	s_delay_alu instid0(VALU_DEP_1) | instskip(NEXT) | instid1(VALU_DEP_1)
	v_fma_f32 v10, -v6, v9, v8
	v_fmac_f32_e32 v9, v10, v7
	s_delay_alu instid0(VALU_DEP_1) | instskip(NEXT) | instid1(VALU_DEP_1)
	v_fma_f32 v6, -v6, v9, v8
	v_div_fmas_f32 v6, v6, v7, v9
	s_delay_alu instid0(VALU_DEP_1)
	v_div_fixup_f32 v5, v6, v5, 1.0
.LBB14_8:
	s_waitcnt vmcnt(0)
	s_delay_alu instid0(VALU_DEP_1)
	v_mov_b32_e32 v8, v5
.LBB14_9:
	s_lshr_b32 s4, s3, 8
	s_cmp_gt_i32 s5, 0
	s_waitcnt lgkmcnt(0)
	s_mov_b32 s8, 0
	s_cbranch_scc1 .LBB14_11
; %bb.10:
	s_bitcmp1_b32 s4, 0
	s_mov_b32 s9, 0
	s_cselect_b32 s3, -1, 0
	s_branch .LBB14_12
.LBB14_11:
	s_mov_b32 s8, -1
                                        ; implicit-def: $sgpr9
                                        ; implicit-def: $sgpr3
.LBB14_12:
	v_dual_mov_b32 v7, s9 :: v_dual_mov_b32 v6, s9
	v_mbcnt_lo_u32_b32 v5, -1, 0
	s_and_not1_b32 vcc_lo, exec_lo, s8
	s_cbranch_vccnz .LBB14_37
; %bb.13:
	v_add_co_u32 v2, vcc_lo, s0, v2
	v_add_co_ci_u32_e32 v3, vcc_lo, s1, v3, vcc_lo
	v_xor_b32_e32 v6, 16, v5
	s_waitcnt vmcnt(0)
	v_cmp_o_f32_e32 vcc_lo, v8, v8
	v_xor_b32_e32 v7, 8, v5
	v_xor_b32_e32 v9, 4, v5
	;; [unrolled: 1-line block ×4, first 2 shown]
	v_cndmask_b32_e32 v8, 0xff7fffff, v8, vcc_lo
	v_cmp_gt_i32_e32 vcc_lo, 32, v6
	s_bitcmp1_b32 s4, 0
	s_mov_b32 s1, 0
	s_cselect_b32 s3, -1, 0
	v_cndmask_b32_e32 v6, v5, v6, vcc_lo
	v_cmp_gt_i32_e32 vcc_lo, 32, v7
	v_cndmask_b32_e32 v7, v5, v7, vcc_lo
	v_cmp_gt_i32_e32 vcc_lo, 32, v9
	;; [unrolled: 2-line block ×4, first 2 shown]
	s_delay_alu instid0(VALU_DEP_4) | instskip(SKIP_1) | instid1(VALU_DEP_4)
	v_dual_cndmask_b32 v14, v5, v11 :: v_dual_lshlrev_b32 v11, 2, v12
	v_lshlrev_b32_e32 v9, 2, v6
	v_lshlrev_b32_e32 v12, 2, v13
	v_dual_mov_b32 v7, 0 :: v_dual_lshlrev_b32 v10, 2, v7
	s_delay_alu instid0(VALU_DEP_4)
	v_dual_mov_b32 v6, 0 :: v_dual_lshlrev_b32 v13, 2, v14
	s_branch .LBB14_15
.LBB14_14:                              ;   in Loop: Header=BB14_15 Depth=1
	s_or_b32 exec_lo, exec_lo, s0
	s_and_b32 s0, s1, 31
	v_cndmask_b32_e64 v8, v8, 0xff800000, vcc_lo
	v_cmp_eq_u32_e32 vcc_lo, s0, v4
	s_add_i32 s1, s1, 1
	s_delay_alu instid0(SALU_CYCLE_1)
	s_cmp_eq_u32 s5, s1
	v_cndmask_b32_e32 v6, v6, v14, vcc_lo
	v_add_co_u32 v2, vcc_lo, v2, 4
	v_add_co_ci_u32_e32 v3, vcc_lo, 0, v3, vcc_lo
	s_cbranch_scc1 .LBB14_37
.LBB14_15:                              ; =>This Inner Loop Header: Depth=1
	s_waitcnt lgkmcnt(0)
	ds_bpermute_b32 v17, v9, v8
	ds_bpermute_b32 v18, v9, v4
	s_mov_b32 s8, exec_lo
                                        ; implicit-def: $vgpr16
	s_waitcnt lgkmcnt(1)
	v_cmp_lt_f32_e64 s4, v8, v17
	v_cmpx_nlt_f32_e32 v8, v17
	s_cbranch_execz .LBB14_17
; %bb.16:                               ;   in Loop: Header=BB14_15 Depth=1
	v_cmp_eq_f32_e32 vcc_lo, v8, v17
	s_waitcnt lgkmcnt(0)
	v_cmp_lt_i32_e64 s0, v18, v4
	v_mov_b32_e32 v16, v8
	s_and_not1_b32 s4, s4, exec_lo
	s_delay_alu instid0(VALU_DEP_2) | instskip(NEXT) | instid1(SALU_CYCLE_1)
	s_and_b32 s0, vcc_lo, s0
	s_and_b32 s0, s0, exec_lo
	s_delay_alu instid0(SALU_CYCLE_1)
	s_or_b32 s4, s4, s0
.LBB14_17:                              ;   in Loop: Header=BB14_15 Depth=1
	s_or_b32 exec_lo, exec_lo, s8
	v_mov_b32_e32 v14, v8
	v_mov_b32_e32 v15, v4
	s_and_saveexec_b32 s0, s4
	s_cbranch_execz .LBB14_19
; %bb.18:                               ;   in Loop: Header=BB14_15 Depth=1
	s_waitcnt lgkmcnt(0)
	v_dual_mov_b32 v16, v17 :: v_dual_mov_b32 v15, v18
	v_mov_b32_e32 v14, v17
.LBB14_19:                              ;   in Loop: Header=BB14_15 Depth=1
	s_or_b32 exec_lo, exec_lo, s0
	ds_bpermute_b32 v17, v10, v16
	s_waitcnt lgkmcnt(1)
	ds_bpermute_b32 v18, v10, v15
	s_mov_b32 s8, exec_lo
	s_waitcnt lgkmcnt(1)
	v_cmp_lt_f32_e64 s4, v14, v17
	v_cmpx_nlt_f32_e32 v14, v17
	s_cbranch_execz .LBB14_21
; %bb.20:                               ;   in Loop: Header=BB14_15 Depth=1
	v_cmp_eq_f32_e32 vcc_lo, v14, v17
	s_waitcnt lgkmcnt(0)
	v_cmp_lt_i32_e64 s0, v18, v15
	s_and_not1_b32 s4, s4, exec_lo
	s_delay_alu instid0(VALU_DEP_1) | instskip(NEXT) | instid1(SALU_CYCLE_1)
	s_and_b32 s0, vcc_lo, s0
	s_and_b32 s0, s0, exec_lo
	s_delay_alu instid0(SALU_CYCLE_1)
	s_or_b32 s4, s4, s0
.LBB14_21:                              ;   in Loop: Header=BB14_15 Depth=1
	s_or_b32 exec_lo, exec_lo, s8
	s_delay_alu instid0(VALU_DEP_2)
	s_and_saveexec_b32 s0, s4
	s_cbranch_execz .LBB14_23
; %bb.22:                               ;   in Loop: Header=BB14_15 Depth=1
	s_waitcnt lgkmcnt(0)
	v_dual_mov_b32 v16, v17 :: v_dual_mov_b32 v15, v18
	v_mov_b32_e32 v14, v17
.LBB14_23:                              ;   in Loop: Header=BB14_15 Depth=1
	s_or_b32 exec_lo, exec_lo, s0
	ds_bpermute_b32 v17, v11, v16
	s_waitcnt lgkmcnt(1)
	ds_bpermute_b32 v18, v11, v15
	s_mov_b32 s8, exec_lo
	s_waitcnt lgkmcnt(1)
	v_cmp_lt_f32_e64 s4, v14, v17
	v_cmpx_nlt_f32_e32 v14, v17
	s_cbranch_execz .LBB14_25
; %bb.24:                               ;   in Loop: Header=BB14_15 Depth=1
	v_cmp_eq_f32_e32 vcc_lo, v14, v17
	s_waitcnt lgkmcnt(0)
	v_cmp_lt_i32_e64 s0, v18, v15
	s_and_not1_b32 s4, s4, exec_lo
	s_delay_alu instid0(VALU_DEP_1) | instskip(NEXT) | instid1(SALU_CYCLE_1)
	s_and_b32 s0, vcc_lo, s0
	s_and_b32 s0, s0, exec_lo
	s_delay_alu instid0(SALU_CYCLE_1)
	s_or_b32 s4, s4, s0
.LBB14_25:                              ;   in Loop: Header=BB14_15 Depth=1
	s_or_b32 exec_lo, exec_lo, s8
	s_delay_alu instid0(VALU_DEP_2)
	s_and_saveexec_b32 s0, s4
	s_cbranch_execz .LBB14_27
; %bb.26:                               ;   in Loop: Header=BB14_15 Depth=1
	s_waitcnt lgkmcnt(0)
	v_dual_mov_b32 v16, v17 :: v_dual_mov_b32 v15, v18
	v_mov_b32_e32 v14, v17
.LBB14_27:                              ;   in Loop: Header=BB14_15 Depth=1
	s_or_b32 exec_lo, exec_lo, s0
	ds_bpermute_b32 v17, v12, v16
	s_waitcnt lgkmcnt(1)
	ds_bpermute_b32 v18, v12, v15
	s_mov_b32 s8, exec_lo
	s_waitcnt lgkmcnt(1)
	v_cmp_lt_f32_e64 s4, v14, v17
	v_cmpx_nlt_f32_e32 v14, v17
	s_cbranch_execz .LBB14_29
; %bb.28:                               ;   in Loop: Header=BB14_15 Depth=1
	v_cmp_eq_f32_e32 vcc_lo, v14, v17
	s_waitcnt lgkmcnt(0)
	v_cmp_lt_i32_e64 s0, v18, v15
	s_and_not1_b32 s4, s4, exec_lo
	s_delay_alu instid0(VALU_DEP_1) | instskip(NEXT) | instid1(SALU_CYCLE_1)
	s_and_b32 s0, vcc_lo, s0
	s_and_b32 s0, s0, exec_lo
	s_delay_alu instid0(SALU_CYCLE_1)
	s_or_b32 s4, s4, s0
.LBB14_29:                              ;   in Loop: Header=BB14_15 Depth=1
	s_or_b32 exec_lo, exec_lo, s8
	s_delay_alu instid0(VALU_DEP_2)
	s_and_saveexec_b32 s0, s4
	s_cbranch_execz .LBB14_31
; %bb.30:                               ;   in Loop: Header=BB14_15 Depth=1
	s_waitcnt lgkmcnt(0)
	v_dual_mov_b32 v16, v17 :: v_dual_mov_b32 v15, v18
	v_mov_b32_e32 v14, v17
.LBB14_31:                              ;   in Loop: Header=BB14_15 Depth=1
	s_or_b32 exec_lo, exec_lo, s0
	ds_bpermute_b32 v16, v13, v16
	ds_bpermute_b32 v17, v13, v15
	s_mov_b32 s8, exec_lo
	s_waitcnt lgkmcnt(1)
	v_cmp_lt_f32_e64 s4, v14, v16
	v_cmpx_nlt_f32_e32 v14, v16
	s_cbranch_execz .LBB14_33
; %bb.32:                               ;   in Loop: Header=BB14_15 Depth=1
	v_cmp_eq_f32_e32 vcc_lo, v14, v16
	s_waitcnt lgkmcnt(0)
	v_cmp_lt_i32_e64 s0, v17, v15
	s_and_not1_b32 s4, s4, exec_lo
	s_delay_alu instid0(VALU_DEP_1) | instskip(NEXT) | instid1(SALU_CYCLE_1)
	s_and_b32 s0, vcc_lo, s0
	s_and_b32 s0, s0, exec_lo
	s_delay_alu instid0(SALU_CYCLE_1)
	s_or_b32 s4, s4, s0
.LBB14_33:                              ;   in Loop: Header=BB14_15 Depth=1
	s_or_b32 exec_lo, exec_lo, s8
	s_delay_alu instid0(VALU_DEP_2)
	s_and_saveexec_b32 s0, s4
	s_cbranch_execz .LBB14_35
; %bb.34:                               ;   in Loop: Header=BB14_15 Depth=1
	s_waitcnt lgkmcnt(0)
	v_dual_mov_b32 v14, v16 :: v_dual_mov_b32 v15, v17
.LBB14_35:                              ;   in Loop: Header=BB14_15 Depth=1
	s_or_b32 exec_lo, exec_lo, s0
	s_delay_alu instid0(VALU_DEP_1) | instskip(NEXT) | instid1(VALU_DEP_1)
	v_and_b32_e32 v16, 31, v15
	v_cmp_eq_u32_e32 vcc_lo, v16, v4
	s_and_saveexec_b32 s0, vcc_lo
	s_cbranch_execz .LBB14_14
; %bb.36:                               ;   in Loop: Header=BB14_15 Depth=1
	v_add_f32_e32 v16, v7, v14
	global_store_b32 v[2:3], v15, off
	v_cndmask_b32_e64 v7, v7, v16, s3
	s_branch .LBB14_14
.LBB14_37:
	s_and_b32 vcc_lo, exec_lo, s3
	s_cbranch_vccnz .LBB14_42
; %bb.38:
	v_cmp_gt_i32_e64 s0, s5, v4
	s_and_not1_b32 vcc_lo, exec_lo, s2
	s_cbranch_vccz .LBB14_43
.LBB14_39:
	v_cmp_gt_i32_e32 vcc_lo, s5, v4
	s_and_b32 exec_lo, exec_lo, vcc_lo
	s_cbranch_execz .LBB14_41
.LBB14_40:
	v_mul_lo_u32 v1, v1, s5
	s_delay_alu instid0(VALU_DEP_1) | instskip(NEXT) | instid1(VALU_DEP_1)
	v_ashrrev_i32_e32 v2, 31, v1
	v_lshlrev_b64 v[1:2], 2, v[1:2]
	s_delay_alu instid0(VALU_DEP_1) | instskip(NEXT) | instid1(VALU_DEP_2)
	v_add_co_u32 v1, vcc_lo, s10, v1
	v_add_co_ci_u32_e32 v2, vcc_lo, s11, v2, vcc_lo
	s_delay_alu instid0(VALU_DEP_2) | instskip(NEXT) | instid1(VALU_DEP_2)
	v_add_co_u32 v0, vcc_lo, v1, v0
	v_add_co_ci_u32_e32 v1, vcc_lo, 0, v2, vcc_lo
	v_mul_f32_e32 v2, s7, v6
	global_store_b32 v[0:1], v2, off
.LBB14_41:
	s_nop 0
	s_sendmsg sendmsg(MSG_DEALLOC_VGPRS)
	s_endpgm
.LBB14_42:
	v_xor_b32_e32 v2, 16, v5
	v_xor_b32_e32 v3, 8, v5
	s_delay_alu instid0(VALU_DEP_2) | instskip(SKIP_1) | instid1(VALU_DEP_3)
	v_cmp_gt_i32_e32 vcc_lo, 32, v2
	v_cndmask_b32_e32 v2, v5, v2, vcc_lo
	v_cmp_gt_i32_e32 vcc_lo, 32, v3
	v_cndmask_b32_e32 v3, v5, v3, vcc_lo
	s_delay_alu instid0(VALU_DEP_1) | instskip(NEXT) | instid1(VALU_DEP_4)
	v_lshlrev_b32_e32 v3, 2, v3
	v_lshlrev_b32_e32 v2, 2, v2
	ds_bpermute_b32 v2, v2, v7
	s_waitcnt lgkmcnt(0)
	v_add_f32_e32 v2, v7, v2
	v_xor_b32_e32 v7, 4, v5
	ds_bpermute_b32 v3, v3, v2
	v_cmp_gt_i32_e32 vcc_lo, 32, v7
	v_cndmask_b32_e32 v7, v5, v7, vcc_lo
	s_delay_alu instid0(VALU_DEP_1) | instskip(SKIP_4) | instid1(VALU_DEP_1)
	v_lshlrev_b32_e32 v7, 2, v7
	s_waitcnt lgkmcnt(0)
	v_add_f32_e32 v2, v2, v3
	ds_bpermute_b32 v3, v7, v2
	v_xor_b32_e32 v7, 2, v5
	v_cmp_gt_i32_e32 vcc_lo, 32, v7
	v_cndmask_b32_e32 v7, v5, v7, vcc_lo
	s_delay_alu instid0(VALU_DEP_1) | instskip(SKIP_4) | instid1(VALU_DEP_1)
	v_lshlrev_b32_e32 v7, 2, v7
	s_waitcnt lgkmcnt(0)
	v_add_f32_e32 v2, v2, v3
	ds_bpermute_b32 v3, v7, v2
	v_xor_b32_e32 v7, 1, v5
	v_cmp_gt_i32_e32 vcc_lo, 32, v7
	v_cndmask_b32_e32 v7, v5, v7, vcc_lo
	s_delay_alu instid0(VALU_DEP_1)
	v_lshlrev_b32_e32 v7, 2, v7
	s_waitcnt lgkmcnt(0)
	v_add_f32_e32 v2, v2, v3
	ds_bpermute_b32 v3, v7, v2
	v_max_f32_e64 v7, s6, s6
	s_waitcnt lgkmcnt(0)
	v_add_f32_e32 v2, v2, v3
	s_delay_alu instid0(VALU_DEP_1) | instskip(NEXT) | instid1(VALU_DEP_1)
	v_max_f32_e32 v2, v2, v7
	v_div_scale_f32 v3, null, v2, v2, 1.0
	s_delay_alu instid0(VALU_DEP_1) | instskip(SKIP_3) | instid1(VALU_DEP_1)
	v_rcp_f32_e32 v7, v3
	s_waitcnt vmcnt(0)
	s_waitcnt_depctr 0xfff
	v_fma_f32 v8, -v3, v7, 1.0
	v_fmac_f32_e32 v7, v8, v7
	v_div_scale_f32 v8, vcc_lo, 1.0, v2, 1.0
	s_delay_alu instid0(VALU_DEP_1) | instskip(NEXT) | instid1(VALU_DEP_1)
	v_mul_f32_e32 v9, v8, v7
	v_fma_f32 v10, -v3, v9, v8
	s_delay_alu instid0(VALU_DEP_1) | instskip(NEXT) | instid1(VALU_DEP_1)
	v_fmac_f32_e32 v9, v10, v7
	v_fma_f32 v3, -v3, v9, v8
	s_delay_alu instid0(VALU_DEP_1) | instskip(NEXT) | instid1(VALU_DEP_1)
	v_div_fmas_f32 v3, v3, v7, v9
	v_div_fixup_f32 v2, v3, v2, 1.0
	s_delay_alu instid0(VALU_DEP_1)
	v_mul_f32_e32 v6, v6, v2
	v_cmp_gt_i32_e64 s0, s5, v4
	s_and_not1_b32 vcc_lo, exec_lo, s2
	s_cbranch_vccnz .LBB14_39
.LBB14_43:
	v_xor_b32_e32 v3, 16, v5
	s_waitcnt vmcnt(0)
	v_xor_b32_e32 v8, 8, v5
	v_xor_b32_e32 v9, 4, v5
	;; [unrolled: 1-line block ×4, first 2 shown]
	v_cmp_gt_i32_e32 vcc_lo, 32, v3
	v_dual_max_f32 v2, v6, v6 :: v_dual_cndmask_b32 v3, v5, v3
	s_delay_alu instid0(VALU_DEP_1) | instskip(SKIP_1) | instid1(VALU_DEP_3)
	v_max_f32_e32 v2, 0xff800000, v2
	v_cmp_gt_i32_e32 vcc_lo, 32, v8
	v_lshlrev_b32_e32 v3, 2, v3
	s_delay_alu instid0(VALU_DEP_3)
	v_cndmask_b32_e64 v2, 0xff800000, v2, s0
	ds_bpermute_b32 v7, v3, v2
	v_cndmask_b32_e32 v8, v5, v8, vcc_lo
	v_cmp_gt_i32_e32 vcc_lo, 32, v9
	v_cndmask_b32_e32 v9, v5, v9, vcc_lo
	v_cmp_gt_i32_e32 vcc_lo, 32, v10
	s_delay_alu instid0(VALU_DEP_2) | instskip(SKIP_1) | instid1(VALU_DEP_2)
	v_dual_cndmask_b32 v10, v5, v10 :: v_dual_lshlrev_b32 v9, 2, v9
	v_cmp_gt_i32_e32 vcc_lo, 32, v11
	v_dual_cndmask_b32 v5, v5, v11 :: v_dual_lshlrev_b32 v10, 2, v10
	s_waitcnt lgkmcnt(0)
	v_dual_max_f32 v7, v7, v7 :: v_dual_lshlrev_b32 v8, 2, v8
	s_delay_alu instid0(VALU_DEP_1) | instskip(SKIP_3) | instid1(VALU_DEP_1)
	v_dual_max_f32 v2, v2, v7 :: v_dual_lshlrev_b32 v5, 2, v5
	ds_bpermute_b32 v7, v8, v2
	s_waitcnt lgkmcnt(0)
	v_max_f32_e32 v7, v7, v7
	v_max_f32_e32 v2, v2, v7
	ds_bpermute_b32 v7, v9, v2
	s_waitcnt lgkmcnt(0)
	v_max_f32_e32 v7, v7, v7
	s_delay_alu instid0(VALU_DEP_1) | instskip(SKIP_3) | instid1(VALU_DEP_1)
	v_max_f32_e32 v2, v2, v7
	ds_bpermute_b32 v7, v10, v2
	s_waitcnt lgkmcnt(0)
	v_max_f32_e32 v7, v7, v7
	v_max_f32_e32 v2, v2, v7
	ds_bpermute_b32 v7, v5, v2
	s_waitcnt lgkmcnt(0)
	v_max_f32_e32 v7, v7, v7
	s_delay_alu instid0(VALU_DEP_1) | instskip(NEXT) | instid1(VALU_DEP_1)
	v_max_f32_e32 v2, v2, v7
	v_sub_f32_e32 v2, v6, v2
	s_delay_alu instid0(VALU_DEP_1) | instskip(SKIP_1) | instid1(VALU_DEP_2)
	v_mul_f32_e32 v6, 0x3fb8aa3b, v2
	v_cmp_ngt_f32_e32 vcc_lo, 0xc2ce8ed0, v2
	v_fma_f32 v7, 0x3fb8aa3b, v2, -v6
	v_rndne_f32_e32 v11, v6
	s_delay_alu instid0(VALU_DEP_2) | instskip(NEXT) | instid1(VALU_DEP_2)
	v_fmamk_f32 v7, v2, 0x32a5705f, v7
	v_sub_f32_e32 v6, v6, v11
	s_delay_alu instid0(VALU_DEP_1) | instskip(SKIP_1) | instid1(VALU_DEP_2)
	v_add_f32_e32 v6, v6, v7
	v_cvt_i32_f32_e32 v7, v11
	v_exp_f32_e32 v6, v6
	s_waitcnt_depctr 0xfff
	v_ldexp_f32 v6, v6, v7
	s_delay_alu instid0(VALU_DEP_1) | instskip(SKIP_1) | instid1(VALU_DEP_2)
	v_cndmask_b32_e32 v6, 0, v6, vcc_lo
	v_cmp_nlt_f32_e32 vcc_lo, 0x42b17218, v2
	v_cndmask_b32_e32 v2, 0x7f800000, v6, vcc_lo
	s_delay_alu instid0(VALU_DEP_1)
	v_cndmask_b32_e64 v6, 0, v2, s0
	ds_bpermute_b32 v3, v3, v6
	s_waitcnt lgkmcnt(0)
	v_add_f32_e32 v3, v6, v3
	ds_bpermute_b32 v6, v8, v3
	s_waitcnt lgkmcnt(0)
	v_add_f32_e32 v3, v3, v6
	ds_bpermute_b32 v6, v9, v3
	s_waitcnt lgkmcnt(0)
	v_add_f32_e32 v3, v3, v6
	ds_bpermute_b32 v6, v10, v3
	s_waitcnt lgkmcnt(0)
	v_dual_add_f32 v3, v3, v6 :: v_dual_mov_b32 v6, 0
	ds_bpermute_b32 v5, v5, v3
	s_and_saveexec_b32 s1, s0
	s_cbranch_execz .LBB14_45
; %bb.44:
	s_waitcnt lgkmcnt(0)
	v_add_f32_e32 v3, v3, v5
	s_delay_alu instid0(VALU_DEP_1) | instskip(NEXT) | instid1(VALU_DEP_1)
	v_div_scale_f32 v5, null, v3, v3, 1.0
	v_rcp_f32_e32 v6, v5
	s_waitcnt_depctr 0xfff
	v_fma_f32 v7, -v5, v6, 1.0
	s_delay_alu instid0(VALU_DEP_1) | instskip(SKIP_1) | instid1(VALU_DEP_1)
	v_fmac_f32_e32 v6, v7, v6
	v_div_scale_f32 v7, vcc_lo, 1.0, v3, 1.0
	v_mul_f32_e32 v8, v7, v6
	s_delay_alu instid0(VALU_DEP_1) | instskip(NEXT) | instid1(VALU_DEP_1)
	v_fma_f32 v9, -v5, v8, v7
	v_fmac_f32_e32 v8, v9, v6
	s_delay_alu instid0(VALU_DEP_1) | instskip(NEXT) | instid1(VALU_DEP_1)
	v_fma_f32 v5, -v5, v8, v7
	v_div_fmas_f32 v5, v5, v6, v8
	s_delay_alu instid0(VALU_DEP_1) | instskip(NEXT) | instid1(VALU_DEP_1)
	v_div_fixup_f32 v3, v5, v3, 1.0
	v_mul_f32_e32 v6, v2, v3
.LBB14_45:
	s_or_b32 exec_lo, exec_lo, s1
	v_cmp_gt_i32_e32 vcc_lo, s5, v4
	s_and_b32 exec_lo, exec_lo, vcc_lo
	s_cbranch_execnz .LBB14_40
	s_branch .LBB14_41
	.section	.rodata,"a",@progbits
	.p2align	6, 0x0
	.amdhsa_kernel _Z13topk_moe_cudaILi8ELb0EEvPKfPfPiS2_iiff15topk_moe_config
		.amdhsa_group_segment_fixed_size 0
		.amdhsa_private_segment_fixed_size 0
		.amdhsa_kernarg_size 312
		.amdhsa_user_sgpr_count 15
		.amdhsa_user_sgpr_dispatch_ptr 0
		.amdhsa_user_sgpr_queue_ptr 0
		.amdhsa_user_sgpr_kernarg_segment_ptr 1
		.amdhsa_user_sgpr_dispatch_id 0
		.amdhsa_user_sgpr_private_segment_size 0
		.amdhsa_wavefront_size32 1
		.amdhsa_uses_dynamic_stack 0
		.amdhsa_enable_private_segment 0
		.amdhsa_system_sgpr_workgroup_id_x 1
		.amdhsa_system_sgpr_workgroup_id_y 0
		.amdhsa_system_sgpr_workgroup_id_z 0
		.amdhsa_system_sgpr_workgroup_info 0
		.amdhsa_system_vgpr_workitem_id 1
		.amdhsa_next_free_vgpr 19
		.amdhsa_next_free_sgpr 16
		.amdhsa_reserve_vcc 1
		.amdhsa_float_round_mode_32 0
		.amdhsa_float_round_mode_16_64 0
		.amdhsa_float_denorm_mode_32 3
		.amdhsa_float_denorm_mode_16_64 3
		.amdhsa_dx10_clamp 1
		.amdhsa_ieee_mode 1
		.amdhsa_fp16_overflow 0
		.amdhsa_workgroup_processor_mode 1
		.amdhsa_memory_ordered 1
		.amdhsa_forward_progress 0
		.amdhsa_shared_vgpr_count 0
		.amdhsa_exception_fp_ieee_invalid_op 0
		.amdhsa_exception_fp_denorm_src 0
		.amdhsa_exception_fp_ieee_div_zero 0
		.amdhsa_exception_fp_ieee_overflow 0
		.amdhsa_exception_fp_ieee_underflow 0
		.amdhsa_exception_fp_ieee_inexact 0
		.amdhsa_exception_int_div_zero 0
	.end_amdhsa_kernel
	.section	.text._Z13topk_moe_cudaILi8ELb0EEvPKfPfPiS2_iiff15topk_moe_config,"axG",@progbits,_Z13topk_moe_cudaILi8ELb0EEvPKfPfPiS2_iiff15topk_moe_config,comdat
.Lfunc_end14:
	.size	_Z13topk_moe_cudaILi8ELb0EEvPKfPfPiS2_iiff15topk_moe_config, .Lfunc_end14-_Z13topk_moe_cudaILi8ELb0EEvPKfPfPiS2_iiff15topk_moe_config
                                        ; -- End function
	.section	.AMDGPU.csdata,"",@progbits
; Kernel info:
; codeLenInByte = 2964
; NumSgprs: 18
; NumVgprs: 19
; ScratchSize: 0
; MemoryBound: 0
; FloatMode: 240
; IeeeMode: 1
; LDSByteSize: 0 bytes/workgroup (compile time only)
; SGPRBlocks: 2
; VGPRBlocks: 2
; NumSGPRsForWavesPerEU: 18
; NumVGPRsForWavesPerEU: 19
; Occupancy: 16
; WaveLimiterHint : 0
; COMPUTE_PGM_RSRC2:SCRATCH_EN: 0
; COMPUTE_PGM_RSRC2:USER_SGPR: 15
; COMPUTE_PGM_RSRC2:TRAP_HANDLER: 0
; COMPUTE_PGM_RSRC2:TGID_X_EN: 1
; COMPUTE_PGM_RSRC2:TGID_Y_EN: 0
; COMPUTE_PGM_RSRC2:TGID_Z_EN: 0
; COMPUTE_PGM_RSRC2:TIDIG_COMP_CNT: 1
	.section	.text._Z13topk_moe_cudaILi16ELb0EEvPKfPfPiS2_iiff15topk_moe_config,"axG",@progbits,_Z13topk_moe_cudaILi16ELb0EEvPKfPfPiS2_iiff15topk_moe_config,comdat
	.protected	_Z13topk_moe_cudaILi16ELb0EEvPKfPfPiS2_iiff15topk_moe_config ; -- Begin function _Z13topk_moe_cudaILi16ELb0EEvPKfPfPiS2_iiff15topk_moe_config
	.globl	_Z13topk_moe_cudaILi16ELb0EEvPKfPfPiS2_iiff15topk_moe_config
	.p2align	8
	.type	_Z13topk_moe_cudaILi16ELb0EEvPKfPfPiS2_iiff15topk_moe_config,@function
_Z13topk_moe_cudaILi16ELb0EEvPKfPfPiS2_iiff15topk_moe_config: ; @_Z13topk_moe_cudaILi16ELb0EEvPKfPfPiS2_iiff15topk_moe_config
; %bb.0:
	s_clause 0x1
	s_load_b32 s2, s[0:1], 0x44
	s_load_b128 s[4:7], s[0:1], 0x20
	v_bfe_u32 v3, v0, 10, 10
	s_waitcnt lgkmcnt(0)
	s_lshr_b32 s2, s2, 16
	s_delay_alu instid0(VALU_DEP_1) | instid1(SALU_CYCLE_1)
	v_mad_u64_u32 v[1:2], null, s15, s2, v[3:4]
	s_mov_b32 s2, exec_lo
	s_delay_alu instid0(VALU_DEP_1)
	v_cmpx_gt_i32_e64 s4, v1
	s_cbranch_execz .LBB15_41
; %bb.1:
	v_mov_b32_e32 v2, 0
	v_mov_b32_e32 v8, 0xff800000
	s_clause 0x1
	global_load_u16 v3, v2, s[0:1] offset:48
	global_load_u8 v5, v2, s[0:1] offset:50
	s_clause 0x1
	s_load_b128 s[8:11], s[0:1], 0x0
	s_load_b64 s[0:1], s[0:1], 0x10
	s_waitcnt vmcnt(1)
	v_lshrrev_b32_e32 v2, 8, v3
	v_and_b32_e32 v3, 0xff, v3
	s_waitcnt vmcnt(0)
	v_readfirstlane_b32 s3, v5
	s_delay_alu instid0(VALU_DEP_3) | instskip(SKIP_1) | instid1(VALU_DEP_3)
	v_lshlrev_b16 v4, 8, v2
	v_lshlrev_b32_e32 v2, 4, v1
	s_lshl_b32 s3, s3, 16
	s_delay_alu instid0(VALU_DEP_2) | instskip(NEXT) | instid1(VALU_DEP_2)
	v_or_b32_e32 v6, v3, v4
	v_ashrrev_i32_e32 v3, 31, v2
	v_and_b32_e32 v4, 0x3ff, v0
	s_delay_alu instid0(VALU_DEP_3) | instskip(NEXT) | instid1(VALU_DEP_3)
	v_readfirstlane_b32 s2, v6
	v_lshlrev_b64 v[2:3], 2, v[2:3]
	s_delay_alu instid0(VALU_DEP_3) | instskip(NEXT) | instid1(VALU_DEP_3)
	v_lshlrev_b32_e32 v0, 2, v4
	s_and_b32 s2, 0xffff, s2
	s_delay_alu instid0(SALU_CYCLE_1)
	s_or_b32 s3, s2, s3
	s_mov_b32 s2, exec_lo
	v_cmpx_gt_u32_e32 16, v4
	s_cbranch_execz .LBB15_3
; %bb.2:
	s_waitcnt lgkmcnt(0)
	v_add_co_u32 v5, vcc_lo, s8, v2
	v_add_co_ci_u32_e32 v6, vcc_lo, s9, v3, vcc_lo
	s_delay_alu instid0(VALU_DEP_2) | instskip(NEXT) | instid1(VALU_DEP_2)
	v_add_co_u32 v5, vcc_lo, v5, v0
	v_add_co_ci_u32_e32 v6, vcc_lo, 0, v6, vcc_lo
	global_load_b32 v8, v[5:6], off
.LBB15_3:
	s_or_b32 exec_lo, exec_lo, s2
	s_bitcmp1_b32 s3, 16
	s_cselect_b32 s2, -1, 0
	s_delay_alu instid0(SALU_CYCLE_1)
	s_and_b32 vcc_lo, exec_lo, s2
	s_cbranch_vccnz .LBB15_9
; %bb.4:
	s_bitcmp0_b32 s3, 0
	s_mov_b32 s4, 0
	s_cbranch_scc0 .LBB15_6
; %bb.5:
	v_mbcnt_lo_u32_b32 v5, -1, 0
	s_delay_alu instid0(VALU_DEP_1)
	v_xor_b32_e32 v6, 16, v5
	v_xor_b32_e32 v10, 8, v5
	;; [unrolled: 1-line block ×5, first 2 shown]
	v_cmp_gt_i32_e32 vcc_lo, 32, v6
	s_waitcnt vmcnt(0)
	v_dual_max_f32 v7, v8, v8 :: v_dual_cndmask_b32 v6, v5, v6
	s_delay_alu instid0(VALU_DEP_1) | instskip(SKIP_1) | instid1(VALU_DEP_3)
	v_max_f32_e32 v7, 0xff800000, v7
	v_cmp_gt_i32_e32 vcc_lo, 32, v10
	v_lshlrev_b32_e32 v6, 2, v6
	ds_bpermute_b32 v9, v6, v7
	s_waitcnt lgkmcnt(0)
	v_max_f32_e32 v9, v9, v9
	v_cndmask_b32_e32 v10, v5, v10, vcc_lo
	v_cmp_gt_i32_e32 vcc_lo, 32, v11
	s_delay_alu instid0(VALU_DEP_2)
	v_dual_max_f32 v7, v7, v9 :: v_dual_lshlrev_b32 v10, 2, v10
	v_cndmask_b32_e32 v11, v5, v11, vcc_lo
	v_cmp_gt_i32_e32 vcc_lo, 32, v12
	ds_bpermute_b32 v9, v10, v7
	v_cndmask_b32_e32 v12, v5, v12, vcc_lo
	v_cmp_gt_i32_e32 vcc_lo, 32, v13
	s_delay_alu instid0(VALU_DEP_2) | instskip(SKIP_2) | instid1(VALU_DEP_1)
	v_lshlrev_b32_e32 v12, 2, v12
	v_lshlrev_b32_e32 v11, 2, v11
	v_cndmask_b32_e32 v5, v5, v13, vcc_lo
	v_lshlrev_b32_e32 v5, 2, v5
	s_waitcnt lgkmcnt(0)
	v_max_f32_e32 v9, v9, v9
	s_delay_alu instid0(VALU_DEP_1) | instskip(SKIP_3) | instid1(VALU_DEP_1)
	v_max_f32_e32 v7, v7, v9
	ds_bpermute_b32 v9, v11, v7
	s_waitcnt lgkmcnt(0)
	v_max_f32_e32 v9, v9, v9
	v_max_f32_e32 v7, v7, v9
	ds_bpermute_b32 v9, v12, v7
	s_waitcnt lgkmcnt(0)
	v_max_f32_e32 v9, v9, v9
	s_delay_alu instid0(VALU_DEP_1) | instskip(SKIP_3) | instid1(VALU_DEP_1)
	v_max_f32_e32 v7, v7, v9
	ds_bpermute_b32 v9, v5, v7
	s_waitcnt lgkmcnt(0)
	v_max_f32_e32 v9, v9, v9
	v_max_f32_e32 v7, v7, v9
	s_delay_alu instid0(VALU_DEP_1) | instskip(NEXT) | instid1(VALU_DEP_1)
	v_sub_f32_e32 v7, v8, v7
	v_mul_f32_e32 v9, 0x3fb8aa3b, v7
	v_cmp_ngt_f32_e32 vcc_lo, 0xc2ce8ed0, v7
	s_delay_alu instid0(VALU_DEP_2) | instskip(SKIP_1) | instid1(VALU_DEP_2)
	v_fma_f32 v13, 0x3fb8aa3b, v7, -v9
	v_rndne_f32_e32 v14, v9
	v_fmamk_f32 v13, v7, 0x32a5705f, v13
	s_delay_alu instid0(VALU_DEP_2) | instskip(NEXT) | instid1(VALU_DEP_1)
	v_sub_f32_e32 v9, v9, v14
	v_add_f32_e32 v9, v9, v13
	v_cvt_i32_f32_e32 v13, v14
	s_delay_alu instid0(VALU_DEP_2) | instskip(SKIP_2) | instid1(VALU_DEP_1)
	v_exp_f32_e32 v9, v9
	s_waitcnt_depctr 0xfff
	v_ldexp_f32 v9, v9, v13
	v_cndmask_b32_e32 v9, 0, v9, vcc_lo
	v_cmp_nlt_f32_e32 vcc_lo, 0x42b17218, v7
	s_delay_alu instid0(VALU_DEP_2)
	v_cndmask_b32_e32 v7, 0x7f800000, v9, vcc_lo
	ds_bpermute_b32 v6, v6, v7
	s_waitcnt lgkmcnt(0)
	v_add_f32_e32 v6, v7, v6
	ds_bpermute_b32 v9, v10, v6
	s_waitcnt lgkmcnt(0)
	v_add_f32_e32 v6, v6, v9
	ds_bpermute_b32 v9, v11, v6
	s_waitcnt lgkmcnt(0)
	v_add_f32_e32 v6, v6, v9
	ds_bpermute_b32 v9, v12, v6
	s_waitcnt lgkmcnt(0)
	v_add_f32_e32 v6, v6, v9
	ds_bpermute_b32 v5, v5, v6
	s_waitcnt lgkmcnt(0)
	v_add_f32_e32 v5, v6, v5
	s_delay_alu instid0(VALU_DEP_1) | instskip(NEXT) | instid1(VALU_DEP_1)
	v_div_scale_f32 v6, null, v5, v5, 1.0
	v_rcp_f32_e32 v9, v6
	s_waitcnt_depctr 0xfff
	v_fma_f32 v10, -v6, v9, 1.0
	s_delay_alu instid0(VALU_DEP_1) | instskip(SKIP_1) | instid1(VALU_DEP_1)
	v_fmac_f32_e32 v9, v10, v9
	v_div_scale_f32 v10, vcc_lo, 1.0, v5, 1.0
	v_mul_f32_e32 v11, v10, v9
	s_delay_alu instid0(VALU_DEP_1) | instskip(NEXT) | instid1(VALU_DEP_1)
	v_fma_f32 v12, -v6, v11, v10
	v_fmac_f32_e32 v11, v12, v9
	s_delay_alu instid0(VALU_DEP_1) | instskip(NEXT) | instid1(VALU_DEP_1)
	v_fma_f32 v6, -v6, v11, v10
	v_div_fmas_f32 v6, v6, v9, v11
	s_delay_alu instid0(VALU_DEP_1) | instskip(NEXT) | instid1(VALU_DEP_1)
	v_div_fixup_f32 v5, v6, v5, 1.0
	v_mul_f32_e32 v5, v7, v5
	s_and_not1_b32 vcc_lo, exec_lo, s4
	s_cbranch_vccz .LBB15_7
	s_branch .LBB15_8
.LBB15_6:
                                        ; implicit-def: $vgpr5
.LBB15_7:
	s_waitcnt vmcnt(0)
	v_mul_f32_e32 v5, 0xbfb8aa3b, v8
	v_cmp_nlt_f32_e32 vcc_lo, 0x42ce8ed0, v8
	s_delay_alu instid0(VALU_DEP_2) | instskip(SKIP_1) | instid1(VALU_DEP_2)
	v_rndne_f32_e32 v6, v5
	v_fma_f32 v7, 0xbfb8aa3b, v8, -v5
	v_sub_f32_e32 v5, v5, v6
	s_delay_alu instid0(VALU_DEP_2) | instskip(SKIP_1) | instid1(VALU_DEP_2)
	v_fmamk_f32 v7, v8, 0xb2a5705f, v7
	v_cvt_i32_f32_e32 v6, v6
	v_add_f32_e32 v5, v5, v7
	s_delay_alu instid0(VALU_DEP_1) | instskip(SKIP_2) | instid1(VALU_DEP_1)
	v_exp_f32_e32 v5, v5
	s_waitcnt_depctr 0xfff
	v_ldexp_f32 v5, v5, v6
	v_cndmask_b32_e32 v5, 0, v5, vcc_lo
	v_cmp_ngt_f32_e32 vcc_lo, 0xc2b17218, v8
	s_delay_alu instid0(VALU_DEP_2) | instskip(NEXT) | instid1(VALU_DEP_1)
	v_cndmask_b32_e32 v5, 0x7f800000, v5, vcc_lo
	v_add_f32_e32 v5, 1.0, v5
	s_delay_alu instid0(VALU_DEP_1) | instskip(NEXT) | instid1(VALU_DEP_1)
	v_div_scale_f32 v6, null, v5, v5, 1.0
	v_rcp_f32_e32 v7, v6
	s_waitcnt_depctr 0xfff
	v_fma_f32 v8, -v6, v7, 1.0
	s_delay_alu instid0(VALU_DEP_1) | instskip(SKIP_1) | instid1(VALU_DEP_1)
	v_fmac_f32_e32 v7, v8, v7
	v_div_scale_f32 v8, vcc_lo, 1.0, v5, 1.0
	v_mul_f32_e32 v9, v8, v7
	s_delay_alu instid0(VALU_DEP_1) | instskip(NEXT) | instid1(VALU_DEP_1)
	v_fma_f32 v10, -v6, v9, v8
	v_fmac_f32_e32 v9, v10, v7
	s_delay_alu instid0(VALU_DEP_1) | instskip(NEXT) | instid1(VALU_DEP_1)
	v_fma_f32 v6, -v6, v9, v8
	v_div_fmas_f32 v6, v6, v7, v9
	s_delay_alu instid0(VALU_DEP_1)
	v_div_fixup_f32 v5, v6, v5, 1.0
.LBB15_8:
	s_waitcnt vmcnt(0)
	s_delay_alu instid0(VALU_DEP_1)
	v_mov_b32_e32 v8, v5
.LBB15_9:
	s_lshr_b32 s4, s3, 8
	s_cmp_gt_i32 s5, 0
	s_waitcnt lgkmcnt(0)
	s_mov_b32 s8, 0
	s_cbranch_scc1 .LBB15_11
; %bb.10:
	s_bitcmp1_b32 s4, 0
	s_mov_b32 s9, 0
	s_cselect_b32 s3, -1, 0
	s_branch .LBB15_12
.LBB15_11:
	s_mov_b32 s8, -1
                                        ; implicit-def: $sgpr9
                                        ; implicit-def: $sgpr3
.LBB15_12:
	v_dual_mov_b32 v7, s9 :: v_dual_mov_b32 v6, s9
	v_mbcnt_lo_u32_b32 v5, -1, 0
	s_and_not1_b32 vcc_lo, exec_lo, s8
	s_cbranch_vccnz .LBB15_37
; %bb.13:
	v_add_co_u32 v2, vcc_lo, s0, v2
	v_add_co_ci_u32_e32 v3, vcc_lo, s1, v3, vcc_lo
	v_xor_b32_e32 v6, 16, v5
	s_waitcnt vmcnt(0)
	v_cmp_o_f32_e32 vcc_lo, v8, v8
	v_xor_b32_e32 v7, 8, v5
	v_xor_b32_e32 v9, 4, v5
	;; [unrolled: 1-line block ×4, first 2 shown]
	v_cndmask_b32_e32 v8, 0xff7fffff, v8, vcc_lo
	v_cmp_gt_i32_e32 vcc_lo, 32, v6
	s_bitcmp1_b32 s4, 0
	s_mov_b32 s1, 0
	s_cselect_b32 s3, -1, 0
	v_cndmask_b32_e32 v6, v5, v6, vcc_lo
	v_cmp_gt_i32_e32 vcc_lo, 32, v7
	v_cndmask_b32_e32 v7, v5, v7, vcc_lo
	v_cmp_gt_i32_e32 vcc_lo, 32, v9
	;; [unrolled: 2-line block ×4, first 2 shown]
	s_delay_alu instid0(VALU_DEP_4) | instskip(SKIP_1) | instid1(VALU_DEP_4)
	v_dual_cndmask_b32 v14, v5, v11 :: v_dual_lshlrev_b32 v11, 2, v12
	v_lshlrev_b32_e32 v9, 2, v6
	v_lshlrev_b32_e32 v12, 2, v13
	v_dual_mov_b32 v7, 0 :: v_dual_lshlrev_b32 v10, 2, v7
	s_delay_alu instid0(VALU_DEP_4)
	v_dual_mov_b32 v6, 0 :: v_dual_lshlrev_b32 v13, 2, v14
	s_branch .LBB15_15
.LBB15_14:                              ;   in Loop: Header=BB15_15 Depth=1
	s_or_b32 exec_lo, exec_lo, s0
	s_and_b32 s0, s1, 31
	v_cndmask_b32_e64 v8, v8, 0xff800000, vcc_lo
	v_cmp_eq_u32_e32 vcc_lo, s0, v4
	s_add_i32 s1, s1, 1
	s_delay_alu instid0(SALU_CYCLE_1)
	s_cmp_eq_u32 s5, s1
	v_cndmask_b32_e32 v6, v6, v14, vcc_lo
	v_add_co_u32 v2, vcc_lo, v2, 4
	v_add_co_ci_u32_e32 v3, vcc_lo, 0, v3, vcc_lo
	s_cbranch_scc1 .LBB15_37
.LBB15_15:                              ; =>This Inner Loop Header: Depth=1
	s_waitcnt lgkmcnt(0)
	ds_bpermute_b32 v17, v9, v8
	ds_bpermute_b32 v18, v9, v4
	s_mov_b32 s8, exec_lo
                                        ; implicit-def: $vgpr16
	s_waitcnt lgkmcnt(1)
	v_cmp_lt_f32_e64 s4, v8, v17
	v_cmpx_nlt_f32_e32 v8, v17
	s_cbranch_execz .LBB15_17
; %bb.16:                               ;   in Loop: Header=BB15_15 Depth=1
	v_cmp_eq_f32_e32 vcc_lo, v8, v17
	s_waitcnt lgkmcnt(0)
	v_cmp_lt_i32_e64 s0, v18, v4
	v_mov_b32_e32 v16, v8
	s_and_not1_b32 s4, s4, exec_lo
	s_delay_alu instid0(VALU_DEP_2) | instskip(NEXT) | instid1(SALU_CYCLE_1)
	s_and_b32 s0, vcc_lo, s0
	s_and_b32 s0, s0, exec_lo
	s_delay_alu instid0(SALU_CYCLE_1)
	s_or_b32 s4, s4, s0
.LBB15_17:                              ;   in Loop: Header=BB15_15 Depth=1
	s_or_b32 exec_lo, exec_lo, s8
	v_mov_b32_e32 v14, v8
	v_mov_b32_e32 v15, v4
	s_and_saveexec_b32 s0, s4
	s_cbranch_execz .LBB15_19
; %bb.18:                               ;   in Loop: Header=BB15_15 Depth=1
	s_waitcnt lgkmcnt(0)
	v_dual_mov_b32 v16, v17 :: v_dual_mov_b32 v15, v18
	v_mov_b32_e32 v14, v17
.LBB15_19:                              ;   in Loop: Header=BB15_15 Depth=1
	s_or_b32 exec_lo, exec_lo, s0
	ds_bpermute_b32 v17, v10, v16
	s_waitcnt lgkmcnt(1)
	ds_bpermute_b32 v18, v10, v15
	s_mov_b32 s8, exec_lo
	s_waitcnt lgkmcnt(1)
	v_cmp_lt_f32_e64 s4, v14, v17
	v_cmpx_nlt_f32_e32 v14, v17
	s_cbranch_execz .LBB15_21
; %bb.20:                               ;   in Loop: Header=BB15_15 Depth=1
	v_cmp_eq_f32_e32 vcc_lo, v14, v17
	s_waitcnt lgkmcnt(0)
	v_cmp_lt_i32_e64 s0, v18, v15
	s_and_not1_b32 s4, s4, exec_lo
	s_delay_alu instid0(VALU_DEP_1) | instskip(NEXT) | instid1(SALU_CYCLE_1)
	s_and_b32 s0, vcc_lo, s0
	s_and_b32 s0, s0, exec_lo
	s_delay_alu instid0(SALU_CYCLE_1)
	s_or_b32 s4, s4, s0
.LBB15_21:                              ;   in Loop: Header=BB15_15 Depth=1
	s_or_b32 exec_lo, exec_lo, s8
	s_delay_alu instid0(VALU_DEP_2)
	s_and_saveexec_b32 s0, s4
	s_cbranch_execz .LBB15_23
; %bb.22:                               ;   in Loop: Header=BB15_15 Depth=1
	s_waitcnt lgkmcnt(0)
	v_dual_mov_b32 v16, v17 :: v_dual_mov_b32 v15, v18
	v_mov_b32_e32 v14, v17
.LBB15_23:                              ;   in Loop: Header=BB15_15 Depth=1
	s_or_b32 exec_lo, exec_lo, s0
	ds_bpermute_b32 v17, v11, v16
	s_waitcnt lgkmcnt(1)
	ds_bpermute_b32 v18, v11, v15
	s_mov_b32 s8, exec_lo
	s_waitcnt lgkmcnt(1)
	v_cmp_lt_f32_e64 s4, v14, v17
	v_cmpx_nlt_f32_e32 v14, v17
	s_cbranch_execz .LBB15_25
; %bb.24:                               ;   in Loop: Header=BB15_15 Depth=1
	v_cmp_eq_f32_e32 vcc_lo, v14, v17
	s_waitcnt lgkmcnt(0)
	v_cmp_lt_i32_e64 s0, v18, v15
	s_and_not1_b32 s4, s4, exec_lo
	s_delay_alu instid0(VALU_DEP_1) | instskip(NEXT) | instid1(SALU_CYCLE_1)
	s_and_b32 s0, vcc_lo, s0
	s_and_b32 s0, s0, exec_lo
	s_delay_alu instid0(SALU_CYCLE_1)
	s_or_b32 s4, s4, s0
.LBB15_25:                              ;   in Loop: Header=BB15_15 Depth=1
	s_or_b32 exec_lo, exec_lo, s8
	s_delay_alu instid0(VALU_DEP_2)
	;; [unrolled: 29-line block ×3, first 2 shown]
	s_and_saveexec_b32 s0, s4
	s_cbranch_execz .LBB15_31
; %bb.30:                               ;   in Loop: Header=BB15_15 Depth=1
	s_waitcnt lgkmcnt(0)
	v_dual_mov_b32 v16, v17 :: v_dual_mov_b32 v15, v18
	v_mov_b32_e32 v14, v17
.LBB15_31:                              ;   in Loop: Header=BB15_15 Depth=1
	s_or_b32 exec_lo, exec_lo, s0
	ds_bpermute_b32 v16, v13, v16
	ds_bpermute_b32 v17, v13, v15
	s_mov_b32 s8, exec_lo
	s_waitcnt lgkmcnt(1)
	v_cmp_lt_f32_e64 s4, v14, v16
	v_cmpx_nlt_f32_e32 v14, v16
	s_cbranch_execz .LBB15_33
; %bb.32:                               ;   in Loop: Header=BB15_15 Depth=1
	v_cmp_eq_f32_e32 vcc_lo, v14, v16
	s_waitcnt lgkmcnt(0)
	v_cmp_lt_i32_e64 s0, v17, v15
	s_and_not1_b32 s4, s4, exec_lo
	s_delay_alu instid0(VALU_DEP_1) | instskip(NEXT) | instid1(SALU_CYCLE_1)
	s_and_b32 s0, vcc_lo, s0
	s_and_b32 s0, s0, exec_lo
	s_delay_alu instid0(SALU_CYCLE_1)
	s_or_b32 s4, s4, s0
.LBB15_33:                              ;   in Loop: Header=BB15_15 Depth=1
	s_or_b32 exec_lo, exec_lo, s8
	s_delay_alu instid0(VALU_DEP_2)
	s_and_saveexec_b32 s0, s4
	s_cbranch_execz .LBB15_35
; %bb.34:                               ;   in Loop: Header=BB15_15 Depth=1
	s_waitcnt lgkmcnt(0)
	v_dual_mov_b32 v14, v16 :: v_dual_mov_b32 v15, v17
.LBB15_35:                              ;   in Loop: Header=BB15_15 Depth=1
	s_or_b32 exec_lo, exec_lo, s0
	s_delay_alu instid0(VALU_DEP_1) | instskip(NEXT) | instid1(VALU_DEP_1)
	v_and_b32_e32 v16, 31, v15
	v_cmp_eq_u32_e32 vcc_lo, v16, v4
	s_and_saveexec_b32 s0, vcc_lo
	s_cbranch_execz .LBB15_14
; %bb.36:                               ;   in Loop: Header=BB15_15 Depth=1
	v_add_f32_e32 v16, v7, v14
	global_store_b32 v[2:3], v15, off
	v_cndmask_b32_e64 v7, v7, v16, s3
	s_branch .LBB15_14
.LBB15_37:
	s_and_b32 vcc_lo, exec_lo, s3
	s_cbranch_vccnz .LBB15_42
; %bb.38:
	v_cmp_gt_i32_e64 s0, s5, v4
	s_and_not1_b32 vcc_lo, exec_lo, s2
	s_cbranch_vccz .LBB15_43
.LBB15_39:
	v_cmp_gt_i32_e32 vcc_lo, s5, v4
	s_and_b32 exec_lo, exec_lo, vcc_lo
	s_cbranch_execz .LBB15_41
.LBB15_40:
	v_mul_lo_u32 v1, v1, s5
	s_delay_alu instid0(VALU_DEP_1) | instskip(NEXT) | instid1(VALU_DEP_1)
	v_ashrrev_i32_e32 v2, 31, v1
	v_lshlrev_b64 v[1:2], 2, v[1:2]
	s_delay_alu instid0(VALU_DEP_1) | instskip(NEXT) | instid1(VALU_DEP_2)
	v_add_co_u32 v1, vcc_lo, s10, v1
	v_add_co_ci_u32_e32 v2, vcc_lo, s11, v2, vcc_lo
	s_delay_alu instid0(VALU_DEP_2) | instskip(NEXT) | instid1(VALU_DEP_2)
	v_add_co_u32 v0, vcc_lo, v1, v0
	v_add_co_ci_u32_e32 v1, vcc_lo, 0, v2, vcc_lo
	v_mul_f32_e32 v2, s7, v6
	global_store_b32 v[0:1], v2, off
.LBB15_41:
	s_nop 0
	s_sendmsg sendmsg(MSG_DEALLOC_VGPRS)
	s_endpgm
.LBB15_42:
	v_xor_b32_e32 v2, 16, v5
	v_xor_b32_e32 v3, 8, v5
	s_delay_alu instid0(VALU_DEP_2) | instskip(SKIP_1) | instid1(VALU_DEP_3)
	v_cmp_gt_i32_e32 vcc_lo, 32, v2
	v_cndmask_b32_e32 v2, v5, v2, vcc_lo
	v_cmp_gt_i32_e32 vcc_lo, 32, v3
	v_cndmask_b32_e32 v3, v5, v3, vcc_lo
	s_delay_alu instid0(VALU_DEP_1) | instskip(NEXT) | instid1(VALU_DEP_4)
	v_lshlrev_b32_e32 v3, 2, v3
	v_lshlrev_b32_e32 v2, 2, v2
	ds_bpermute_b32 v2, v2, v7
	s_waitcnt lgkmcnt(0)
	v_add_f32_e32 v2, v7, v2
	v_xor_b32_e32 v7, 4, v5
	ds_bpermute_b32 v3, v3, v2
	v_cmp_gt_i32_e32 vcc_lo, 32, v7
	v_cndmask_b32_e32 v7, v5, v7, vcc_lo
	s_delay_alu instid0(VALU_DEP_1) | instskip(SKIP_4) | instid1(VALU_DEP_1)
	v_lshlrev_b32_e32 v7, 2, v7
	s_waitcnt lgkmcnt(0)
	v_add_f32_e32 v2, v2, v3
	ds_bpermute_b32 v3, v7, v2
	v_xor_b32_e32 v7, 2, v5
	v_cmp_gt_i32_e32 vcc_lo, 32, v7
	v_cndmask_b32_e32 v7, v5, v7, vcc_lo
	s_delay_alu instid0(VALU_DEP_1) | instskip(SKIP_4) | instid1(VALU_DEP_1)
	v_lshlrev_b32_e32 v7, 2, v7
	s_waitcnt lgkmcnt(0)
	v_add_f32_e32 v2, v2, v3
	ds_bpermute_b32 v3, v7, v2
	v_xor_b32_e32 v7, 1, v5
	v_cmp_gt_i32_e32 vcc_lo, 32, v7
	v_cndmask_b32_e32 v7, v5, v7, vcc_lo
	s_delay_alu instid0(VALU_DEP_1)
	v_lshlrev_b32_e32 v7, 2, v7
	s_waitcnt lgkmcnt(0)
	v_add_f32_e32 v2, v2, v3
	ds_bpermute_b32 v3, v7, v2
	v_max_f32_e64 v7, s6, s6
	s_waitcnt lgkmcnt(0)
	v_add_f32_e32 v2, v2, v3
	s_delay_alu instid0(VALU_DEP_1) | instskip(NEXT) | instid1(VALU_DEP_1)
	v_max_f32_e32 v2, v2, v7
	v_div_scale_f32 v3, null, v2, v2, 1.0
	s_delay_alu instid0(VALU_DEP_1) | instskip(SKIP_3) | instid1(VALU_DEP_1)
	v_rcp_f32_e32 v7, v3
	s_waitcnt vmcnt(0)
	s_waitcnt_depctr 0xfff
	v_fma_f32 v8, -v3, v7, 1.0
	v_fmac_f32_e32 v7, v8, v7
	v_div_scale_f32 v8, vcc_lo, 1.0, v2, 1.0
	s_delay_alu instid0(VALU_DEP_1) | instskip(NEXT) | instid1(VALU_DEP_1)
	v_mul_f32_e32 v9, v8, v7
	v_fma_f32 v10, -v3, v9, v8
	s_delay_alu instid0(VALU_DEP_1) | instskip(NEXT) | instid1(VALU_DEP_1)
	v_fmac_f32_e32 v9, v10, v7
	v_fma_f32 v3, -v3, v9, v8
	s_delay_alu instid0(VALU_DEP_1) | instskip(NEXT) | instid1(VALU_DEP_1)
	v_div_fmas_f32 v3, v3, v7, v9
	v_div_fixup_f32 v2, v3, v2, 1.0
	s_delay_alu instid0(VALU_DEP_1)
	v_mul_f32_e32 v6, v6, v2
	v_cmp_gt_i32_e64 s0, s5, v4
	s_and_not1_b32 vcc_lo, exec_lo, s2
	s_cbranch_vccnz .LBB15_39
.LBB15_43:
	v_xor_b32_e32 v3, 16, v5
	s_waitcnt vmcnt(0)
	v_xor_b32_e32 v8, 8, v5
	v_xor_b32_e32 v9, 4, v5
	;; [unrolled: 1-line block ×4, first 2 shown]
	v_cmp_gt_i32_e32 vcc_lo, 32, v3
	v_dual_max_f32 v2, v6, v6 :: v_dual_cndmask_b32 v3, v5, v3
	s_delay_alu instid0(VALU_DEP_1) | instskip(SKIP_1) | instid1(VALU_DEP_3)
	v_max_f32_e32 v2, 0xff800000, v2
	v_cmp_gt_i32_e32 vcc_lo, 32, v8
	v_lshlrev_b32_e32 v3, 2, v3
	s_delay_alu instid0(VALU_DEP_3)
	v_cndmask_b32_e64 v2, 0xff800000, v2, s0
	ds_bpermute_b32 v7, v3, v2
	v_cndmask_b32_e32 v8, v5, v8, vcc_lo
	v_cmp_gt_i32_e32 vcc_lo, 32, v9
	v_cndmask_b32_e32 v9, v5, v9, vcc_lo
	v_cmp_gt_i32_e32 vcc_lo, 32, v10
	s_delay_alu instid0(VALU_DEP_2) | instskip(SKIP_1) | instid1(VALU_DEP_2)
	v_dual_cndmask_b32 v10, v5, v10 :: v_dual_lshlrev_b32 v9, 2, v9
	v_cmp_gt_i32_e32 vcc_lo, 32, v11
	v_dual_cndmask_b32 v5, v5, v11 :: v_dual_lshlrev_b32 v10, 2, v10
	s_waitcnt lgkmcnt(0)
	v_dual_max_f32 v7, v7, v7 :: v_dual_lshlrev_b32 v8, 2, v8
	s_delay_alu instid0(VALU_DEP_1) | instskip(SKIP_3) | instid1(VALU_DEP_1)
	v_dual_max_f32 v2, v2, v7 :: v_dual_lshlrev_b32 v5, 2, v5
	ds_bpermute_b32 v7, v8, v2
	s_waitcnt lgkmcnt(0)
	v_max_f32_e32 v7, v7, v7
	v_max_f32_e32 v2, v2, v7
	ds_bpermute_b32 v7, v9, v2
	s_waitcnt lgkmcnt(0)
	v_max_f32_e32 v7, v7, v7
	s_delay_alu instid0(VALU_DEP_1) | instskip(SKIP_3) | instid1(VALU_DEP_1)
	v_max_f32_e32 v2, v2, v7
	ds_bpermute_b32 v7, v10, v2
	s_waitcnt lgkmcnt(0)
	v_max_f32_e32 v7, v7, v7
	v_max_f32_e32 v2, v2, v7
	ds_bpermute_b32 v7, v5, v2
	s_waitcnt lgkmcnt(0)
	v_max_f32_e32 v7, v7, v7
	s_delay_alu instid0(VALU_DEP_1) | instskip(NEXT) | instid1(VALU_DEP_1)
	v_max_f32_e32 v2, v2, v7
	v_sub_f32_e32 v2, v6, v2
	s_delay_alu instid0(VALU_DEP_1) | instskip(SKIP_1) | instid1(VALU_DEP_2)
	v_mul_f32_e32 v6, 0x3fb8aa3b, v2
	v_cmp_ngt_f32_e32 vcc_lo, 0xc2ce8ed0, v2
	v_fma_f32 v7, 0x3fb8aa3b, v2, -v6
	v_rndne_f32_e32 v11, v6
	s_delay_alu instid0(VALU_DEP_2) | instskip(NEXT) | instid1(VALU_DEP_2)
	v_fmamk_f32 v7, v2, 0x32a5705f, v7
	v_sub_f32_e32 v6, v6, v11
	s_delay_alu instid0(VALU_DEP_1) | instskip(SKIP_1) | instid1(VALU_DEP_2)
	v_add_f32_e32 v6, v6, v7
	v_cvt_i32_f32_e32 v7, v11
	v_exp_f32_e32 v6, v6
	s_waitcnt_depctr 0xfff
	v_ldexp_f32 v6, v6, v7
	s_delay_alu instid0(VALU_DEP_1) | instskip(SKIP_1) | instid1(VALU_DEP_2)
	v_cndmask_b32_e32 v6, 0, v6, vcc_lo
	v_cmp_nlt_f32_e32 vcc_lo, 0x42b17218, v2
	v_cndmask_b32_e32 v2, 0x7f800000, v6, vcc_lo
	s_delay_alu instid0(VALU_DEP_1)
	v_cndmask_b32_e64 v6, 0, v2, s0
	ds_bpermute_b32 v3, v3, v6
	s_waitcnt lgkmcnt(0)
	v_add_f32_e32 v3, v6, v3
	ds_bpermute_b32 v6, v8, v3
	s_waitcnt lgkmcnt(0)
	v_add_f32_e32 v3, v3, v6
	;; [unrolled: 3-line block ×3, first 2 shown]
	ds_bpermute_b32 v6, v10, v3
	s_waitcnt lgkmcnt(0)
	v_dual_add_f32 v3, v3, v6 :: v_dual_mov_b32 v6, 0
	ds_bpermute_b32 v5, v5, v3
	s_and_saveexec_b32 s1, s0
	s_cbranch_execz .LBB15_45
; %bb.44:
	s_waitcnt lgkmcnt(0)
	v_add_f32_e32 v3, v3, v5
	s_delay_alu instid0(VALU_DEP_1) | instskip(NEXT) | instid1(VALU_DEP_1)
	v_div_scale_f32 v5, null, v3, v3, 1.0
	v_rcp_f32_e32 v6, v5
	s_waitcnt_depctr 0xfff
	v_fma_f32 v7, -v5, v6, 1.0
	s_delay_alu instid0(VALU_DEP_1) | instskip(SKIP_1) | instid1(VALU_DEP_1)
	v_fmac_f32_e32 v6, v7, v6
	v_div_scale_f32 v7, vcc_lo, 1.0, v3, 1.0
	v_mul_f32_e32 v8, v7, v6
	s_delay_alu instid0(VALU_DEP_1) | instskip(NEXT) | instid1(VALU_DEP_1)
	v_fma_f32 v9, -v5, v8, v7
	v_fmac_f32_e32 v8, v9, v6
	s_delay_alu instid0(VALU_DEP_1) | instskip(NEXT) | instid1(VALU_DEP_1)
	v_fma_f32 v5, -v5, v8, v7
	v_div_fmas_f32 v5, v5, v6, v8
	s_delay_alu instid0(VALU_DEP_1) | instskip(NEXT) | instid1(VALU_DEP_1)
	v_div_fixup_f32 v3, v5, v3, 1.0
	v_mul_f32_e32 v6, v2, v3
.LBB15_45:
	s_or_b32 exec_lo, exec_lo, s1
	v_cmp_gt_i32_e32 vcc_lo, s5, v4
	s_and_b32 exec_lo, exec_lo, vcc_lo
	s_cbranch_execnz .LBB15_40
	s_branch .LBB15_41
	.section	.rodata,"a",@progbits
	.p2align	6, 0x0
	.amdhsa_kernel _Z13topk_moe_cudaILi16ELb0EEvPKfPfPiS2_iiff15topk_moe_config
		.amdhsa_group_segment_fixed_size 0
		.amdhsa_private_segment_fixed_size 0
		.amdhsa_kernarg_size 312
		.amdhsa_user_sgpr_count 15
		.amdhsa_user_sgpr_dispatch_ptr 0
		.amdhsa_user_sgpr_queue_ptr 0
		.amdhsa_user_sgpr_kernarg_segment_ptr 1
		.amdhsa_user_sgpr_dispatch_id 0
		.amdhsa_user_sgpr_private_segment_size 0
		.amdhsa_wavefront_size32 1
		.amdhsa_uses_dynamic_stack 0
		.amdhsa_enable_private_segment 0
		.amdhsa_system_sgpr_workgroup_id_x 1
		.amdhsa_system_sgpr_workgroup_id_y 0
		.amdhsa_system_sgpr_workgroup_id_z 0
		.amdhsa_system_sgpr_workgroup_info 0
		.amdhsa_system_vgpr_workitem_id 1
		.amdhsa_next_free_vgpr 19
		.amdhsa_next_free_sgpr 16
		.amdhsa_reserve_vcc 1
		.amdhsa_float_round_mode_32 0
		.amdhsa_float_round_mode_16_64 0
		.amdhsa_float_denorm_mode_32 3
		.amdhsa_float_denorm_mode_16_64 3
		.amdhsa_dx10_clamp 1
		.amdhsa_ieee_mode 1
		.amdhsa_fp16_overflow 0
		.amdhsa_workgroup_processor_mode 1
		.amdhsa_memory_ordered 1
		.amdhsa_forward_progress 0
		.amdhsa_shared_vgpr_count 0
		.amdhsa_exception_fp_ieee_invalid_op 0
		.amdhsa_exception_fp_denorm_src 0
		.amdhsa_exception_fp_ieee_div_zero 0
		.amdhsa_exception_fp_ieee_overflow 0
		.amdhsa_exception_fp_ieee_underflow 0
		.amdhsa_exception_fp_ieee_inexact 0
		.amdhsa_exception_int_div_zero 0
	.end_amdhsa_kernel
	.section	.text._Z13topk_moe_cudaILi16ELb0EEvPKfPfPiS2_iiff15topk_moe_config,"axG",@progbits,_Z13topk_moe_cudaILi16ELb0EEvPKfPfPiS2_iiff15topk_moe_config,comdat
.Lfunc_end15:
	.size	_Z13topk_moe_cudaILi16ELb0EEvPKfPfPiS2_iiff15topk_moe_config, .Lfunc_end15-_Z13topk_moe_cudaILi16ELb0EEvPKfPfPiS2_iiff15topk_moe_config
                                        ; -- End function
	.section	.AMDGPU.csdata,"",@progbits
; Kernel info:
; codeLenInByte = 2964
; NumSgprs: 18
; NumVgprs: 19
; ScratchSize: 0
; MemoryBound: 0
; FloatMode: 240
; IeeeMode: 1
; LDSByteSize: 0 bytes/workgroup (compile time only)
; SGPRBlocks: 2
; VGPRBlocks: 2
; NumSGPRsForWavesPerEU: 18
; NumVGPRsForWavesPerEU: 19
; Occupancy: 16
; WaveLimiterHint : 0
; COMPUTE_PGM_RSRC2:SCRATCH_EN: 0
; COMPUTE_PGM_RSRC2:USER_SGPR: 15
; COMPUTE_PGM_RSRC2:TRAP_HANDLER: 0
; COMPUTE_PGM_RSRC2:TGID_X_EN: 1
; COMPUTE_PGM_RSRC2:TGID_Y_EN: 0
; COMPUTE_PGM_RSRC2:TGID_Z_EN: 0
; COMPUTE_PGM_RSRC2:TIDIG_COMP_CNT: 1
	.section	.text._Z13topk_moe_cudaILi32ELb0EEvPKfPfPiS2_iiff15topk_moe_config,"axG",@progbits,_Z13topk_moe_cudaILi32ELb0EEvPKfPfPiS2_iiff15topk_moe_config,comdat
	.protected	_Z13topk_moe_cudaILi32ELb0EEvPKfPfPiS2_iiff15topk_moe_config ; -- Begin function _Z13topk_moe_cudaILi32ELb0EEvPKfPfPiS2_iiff15topk_moe_config
	.globl	_Z13topk_moe_cudaILi32ELb0EEvPKfPfPiS2_iiff15topk_moe_config
	.p2align	8
	.type	_Z13topk_moe_cudaILi32ELb0EEvPKfPfPiS2_iiff15topk_moe_config,@function
_Z13topk_moe_cudaILi32ELb0EEvPKfPfPiS2_iiff15topk_moe_config: ; @_Z13topk_moe_cudaILi32ELb0EEvPKfPfPiS2_iiff15topk_moe_config
; %bb.0:
	s_clause 0x1
	s_load_b32 s2, s[0:1], 0x44
	s_load_b128 s[4:7], s[0:1], 0x20
	v_bfe_u32 v3, v0, 10, 10
	s_waitcnt lgkmcnt(0)
	s_lshr_b32 s2, s2, 16
	s_delay_alu instid0(VALU_DEP_1) | instid1(SALU_CYCLE_1)
	v_mad_u64_u32 v[1:2], null, s15, s2, v[3:4]
	s_mov_b32 s2, exec_lo
	s_delay_alu instid0(VALU_DEP_1)
	v_cmpx_gt_i32_e64 s4, v1
	s_cbranch_execz .LBB16_39
; %bb.1:
	s_clause 0x1
	s_load_b128 s[8:11], s[0:1], 0x0
	s_load_b64 s[2:3], s[0:1], 0x10
	v_lshlrev_b32_e32 v2, 5, v1
	v_and_b32_e32 v4, 0x3ff, v0
	v_mov_b32_e32 v8, 0
	s_delay_alu instid0(VALU_DEP_3) | instskip(NEXT) | instid1(VALU_DEP_3)
	v_ashrrev_i32_e32 v3, 31, v2
	v_lshlrev_b32_e32 v0, 2, v4
	s_delay_alu instid0(VALU_DEP_2) | instskip(SKIP_1) | instid1(VALU_DEP_1)
	v_lshlrev_b64 v[2:3], 2, v[2:3]
	s_waitcnt lgkmcnt(0)
	v_add_co_u32 v5, vcc_lo, s8, v2
	s_delay_alu instid0(VALU_DEP_2) | instskip(NEXT) | instid1(VALU_DEP_2)
	v_add_co_ci_u32_e32 v7, vcc_lo, s9, v3, vcc_lo
	v_add_co_u32 v6, vcc_lo, v5, v0
	s_delay_alu instid0(VALU_DEP_2)
	v_add_co_ci_u32_e32 v7, vcc_lo, 0, v7, vcc_lo
	global_load_u16 v5, v8, s[0:1] offset:48
	global_load_b32 v8, v[6:7], off
	s_load_b32 s0, s[0:1], 0x30
	s_waitcnt lgkmcnt(0)
	s_bitcmp1_b32 s0, 16
	s_cselect_b32 s1, -1, 0
	s_delay_alu instid0(SALU_CYCLE_1)
	s_and_b32 vcc_lo, exec_lo, s1
	s_cbranch_vccnz .LBB16_7
; %bb.2:
	s_waitcnt vmcnt(1)
	v_and_b32_e32 v6, 1, v5
	s_delay_alu instid0(VALU_DEP_1)
	v_cmp_eq_u32_e32 vcc_lo, 0, v6
	s_cbranch_vccz .LBB16_4
; %bb.3:
	v_mbcnt_lo_u32_b32 v6, -1, 0
	s_waitcnt vmcnt(0)
	v_max_f32_e32 v9, v8, v8
	s_delay_alu instid0(VALU_DEP_2)
	v_xor_b32_e32 v7, 16, v6
	v_xor_b32_e32 v11, 8, v6
	;; [unrolled: 1-line block ×5, first 2 shown]
	v_cmp_gt_i32_e32 vcc_lo, 32, v7
	v_cndmask_b32_e32 v7, v6, v7, vcc_lo
	v_cmp_gt_i32_e32 vcc_lo, 32, v11
	v_cndmask_b32_e32 v11, v6, v11, vcc_lo
	v_cmp_gt_i32_e32 vcc_lo, 32, v12
	v_dual_max_f32 v9, 0xff800000, v9 :: v_dual_cndmask_b32 v12, v6, v12
	v_cmp_gt_i32_e32 vcc_lo, 32, v13
	s_delay_alu instid0(VALU_DEP_2)
	v_lshlrev_b32_e32 v12, 2, v12
	v_lshlrev_b32_e32 v7, 2, v7
	v_cndmask_b32_e32 v13, v6, v13, vcc_lo
	v_cmp_gt_i32_e32 vcc_lo, 32, v14
	ds_bpermute_b32 v10, v7, v9
	v_dual_cndmask_b32 v6, v6, v14 :: v_dual_lshlrev_b32 v13, 2, v13
	s_delay_alu instid0(VALU_DEP_1) | instskip(SKIP_2) | instid1(VALU_DEP_1)
	v_lshlrev_b32_e32 v6, 2, v6
	s_waitcnt lgkmcnt(0)
	v_dual_max_f32 v10, v10, v10 :: v_dual_lshlrev_b32 v11, 2, v11
	v_max_f32_e32 v9, v9, v10
	ds_bpermute_b32 v10, v11, v9
	s_waitcnt lgkmcnt(0)
	v_max_f32_e32 v10, v10, v10
	s_delay_alu instid0(VALU_DEP_1) | instskip(SKIP_3) | instid1(VALU_DEP_1)
	v_max_f32_e32 v9, v9, v10
	ds_bpermute_b32 v10, v12, v9
	s_waitcnt lgkmcnt(0)
	v_max_f32_e32 v10, v10, v10
	v_max_f32_e32 v9, v9, v10
	ds_bpermute_b32 v10, v13, v9
	s_waitcnt lgkmcnt(0)
	v_max_f32_e32 v10, v10, v10
	s_delay_alu instid0(VALU_DEP_1) | instskip(SKIP_3) | instid1(VALU_DEP_1)
	v_max_f32_e32 v9, v9, v10
	ds_bpermute_b32 v10, v6, v9
	s_waitcnt lgkmcnt(0)
	v_max_f32_e32 v10, v10, v10
	v_max_f32_e32 v9, v9, v10
	s_delay_alu instid0(VALU_DEP_1) | instskip(NEXT) | instid1(VALU_DEP_1)
	v_sub_f32_e32 v9, v8, v9
	v_mul_f32_e32 v10, 0x3fb8aa3b, v9
	v_cmp_ngt_f32_e32 vcc_lo, 0xc2ce8ed0, v9
	s_delay_alu instid0(VALU_DEP_2) | instskip(SKIP_1) | instid1(VALU_DEP_2)
	v_fma_f32 v14, 0x3fb8aa3b, v9, -v10
	v_rndne_f32_e32 v15, v10
	v_fmamk_f32 v14, v9, 0x32a5705f, v14
	s_delay_alu instid0(VALU_DEP_2) | instskip(NEXT) | instid1(VALU_DEP_1)
	v_sub_f32_e32 v10, v10, v15
	v_add_f32_e32 v10, v10, v14
	v_cvt_i32_f32_e32 v14, v15
	s_delay_alu instid0(VALU_DEP_2) | instskip(SKIP_2) | instid1(VALU_DEP_1)
	v_exp_f32_e32 v10, v10
	s_waitcnt_depctr 0xfff
	v_ldexp_f32 v10, v10, v14
	v_cndmask_b32_e32 v10, 0, v10, vcc_lo
	v_cmp_nlt_f32_e32 vcc_lo, 0x42b17218, v9
	s_delay_alu instid0(VALU_DEP_2)
	v_cndmask_b32_e32 v9, 0x7f800000, v10, vcc_lo
	ds_bpermute_b32 v7, v7, v9
	s_waitcnt lgkmcnt(0)
	v_add_f32_e32 v7, v9, v7
	ds_bpermute_b32 v10, v11, v7
	s_waitcnt lgkmcnt(0)
	v_add_f32_e32 v7, v7, v10
	;; [unrolled: 3-line block ×5, first 2 shown]
	s_delay_alu instid0(VALU_DEP_1) | instskip(NEXT) | instid1(VALU_DEP_1)
	v_div_scale_f32 v7, null, v6, v6, 1.0
	v_rcp_f32_e32 v10, v7
	s_waitcnt_depctr 0xfff
	v_fma_f32 v11, -v7, v10, 1.0
	s_delay_alu instid0(VALU_DEP_1) | instskip(SKIP_1) | instid1(VALU_DEP_1)
	v_fmac_f32_e32 v10, v11, v10
	v_div_scale_f32 v11, vcc_lo, 1.0, v6, 1.0
	v_mul_f32_e32 v12, v11, v10
	s_delay_alu instid0(VALU_DEP_1) | instskip(NEXT) | instid1(VALU_DEP_1)
	v_fma_f32 v13, -v7, v12, v11
	v_fmac_f32_e32 v12, v13, v10
	s_delay_alu instid0(VALU_DEP_1) | instskip(NEXT) | instid1(VALU_DEP_1)
	v_fma_f32 v7, -v7, v12, v11
	v_div_fmas_f32 v7, v7, v10, v12
	s_delay_alu instid0(VALU_DEP_1) | instskip(NEXT) | instid1(VALU_DEP_1)
	v_div_fixup_f32 v6, v7, v6, 1.0
	v_mul_f32_e32 v6, v9, v6
	s_cbranch_execz .LBB16_5
	s_branch .LBB16_6
.LBB16_4:
                                        ; implicit-def: $vgpr6
.LBB16_5:
	s_waitcnt vmcnt(0)
	v_mul_f32_e32 v6, 0xbfb8aa3b, v8
	v_cmp_nlt_f32_e32 vcc_lo, 0x42ce8ed0, v8
	s_delay_alu instid0(VALU_DEP_2) | instskip(SKIP_1) | instid1(VALU_DEP_1)
	v_rndne_f32_e32 v7, v6
	v_fma_f32 v9, 0xbfb8aa3b, v8, -v6
	v_dual_sub_f32 v6, v6, v7 :: v_dual_fmamk_f32 v9, v8, 0xb2a5705f, v9
	v_cvt_i32_f32_e32 v7, v7
	s_delay_alu instid0(VALU_DEP_2) | instskip(NEXT) | instid1(VALU_DEP_1)
	v_add_f32_e32 v6, v6, v9
	v_exp_f32_e32 v6, v6
	s_waitcnt_depctr 0xfff
	v_ldexp_f32 v6, v6, v7
	s_delay_alu instid0(VALU_DEP_1) | instskip(SKIP_1) | instid1(VALU_DEP_2)
	v_cndmask_b32_e32 v6, 0, v6, vcc_lo
	v_cmp_ngt_f32_e32 vcc_lo, 0xc2b17218, v8
	v_cndmask_b32_e32 v6, 0x7f800000, v6, vcc_lo
	s_delay_alu instid0(VALU_DEP_1) | instskip(NEXT) | instid1(VALU_DEP_1)
	v_add_f32_e32 v6, 1.0, v6
	v_div_scale_f32 v7, null, v6, v6, 1.0
	s_delay_alu instid0(VALU_DEP_1) | instskip(SKIP_2) | instid1(VALU_DEP_1)
	v_rcp_f32_e32 v8, v7
	s_waitcnt_depctr 0xfff
	v_fma_f32 v9, -v7, v8, 1.0
	v_fmac_f32_e32 v8, v9, v8
	v_div_scale_f32 v9, vcc_lo, 1.0, v6, 1.0
	s_delay_alu instid0(VALU_DEP_1) | instskip(NEXT) | instid1(VALU_DEP_1)
	v_mul_f32_e32 v10, v9, v8
	v_fma_f32 v11, -v7, v10, v9
	s_delay_alu instid0(VALU_DEP_1) | instskip(NEXT) | instid1(VALU_DEP_1)
	v_fmac_f32_e32 v10, v11, v8
	v_fma_f32 v7, -v7, v10, v9
	s_delay_alu instid0(VALU_DEP_1) | instskip(NEXT) | instid1(VALU_DEP_1)
	v_div_fmas_f32 v7, v7, v8, v10
	v_div_fixup_f32 v6, v7, v6, 1.0
.LBB16_6:
	s_waitcnt vmcnt(0)
	s_delay_alu instid0(VALU_DEP_1)
	v_mov_b32_e32 v8, v6
.LBB16_7:
	s_waitcnt vmcnt(1)
	v_lshrrev_b16 v5, 8, v5
	s_cmp_gt_i32 s5, 0
	s_delay_alu instid0(VALU_DEP_1)
	v_readfirstlane_b32 s0, v5
	s_cbranch_scc1 .LBB16_9
; %bb.8:
	s_delay_alu instid0(VALU_DEP_1)
	s_bitcmp1_b32 s0, 0
	s_mov_b32 s8, 0
	s_mov_b32 s9, 0
	s_cselect_b32 s4, -1, 0
	s_branch .LBB16_10
.LBB16_9:
	s_mov_b32 s8, -1
                                        ; implicit-def: $sgpr9
                                        ; implicit-def: $sgpr4
.LBB16_10:
	v_dual_mov_b32 v7, s9 :: v_dual_mov_b32 v6, s9
	v_mbcnt_lo_u32_b32 v5, -1, 0
	s_and_not1_b32 vcc_lo, exec_lo, s8
	s_cbranch_vccnz .LBB16_35
; %bb.11:
	v_add_co_u32 v2, vcc_lo, s2, v2
	v_add_co_ci_u32_e32 v3, vcc_lo, s3, v3, vcc_lo
	v_xor_b32_e32 v6, 16, v5
	s_waitcnt vmcnt(0)
	v_cmp_o_f32_e32 vcc_lo, v8, v8
	v_xor_b32_e32 v7, 8, v5
	v_xor_b32_e32 v9, 4, v5
	;; [unrolled: 1-line block ×4, first 2 shown]
	v_cndmask_b32_e32 v8, 0xff7fffff, v8, vcc_lo
	v_cmp_gt_i32_e32 vcc_lo, 32, v6
	s_bitcmp1_b32 s0, 0
	s_mov_b32 s2, 0
	s_cselect_b32 s4, -1, 0
	v_cndmask_b32_e32 v6, v5, v6, vcc_lo
	v_cmp_gt_i32_e32 vcc_lo, 32, v7
	v_cndmask_b32_e32 v7, v5, v7, vcc_lo
	v_cmp_gt_i32_e32 vcc_lo, 32, v9
	;; [unrolled: 2-line block ×4, first 2 shown]
	s_delay_alu instid0(VALU_DEP_4) | instskip(SKIP_1) | instid1(VALU_DEP_4)
	v_dual_cndmask_b32 v14, v5, v11 :: v_dual_lshlrev_b32 v11, 2, v12
	v_lshlrev_b32_e32 v9, 2, v6
	v_lshlrev_b32_e32 v12, 2, v13
	v_dual_mov_b32 v7, 0 :: v_dual_lshlrev_b32 v10, 2, v7
	s_delay_alu instid0(VALU_DEP_4)
	v_dual_mov_b32 v6, 0 :: v_dual_lshlrev_b32 v13, 2, v14
	s_branch .LBB16_13
.LBB16_12:                              ;   in Loop: Header=BB16_13 Depth=1
	s_or_b32 exec_lo, exec_lo, s0
	s_and_b32 s0, s2, 31
	v_cndmask_b32_e64 v8, v8, 0xff800000, vcc_lo
	v_cmp_eq_u32_e32 vcc_lo, s0, v4
	s_add_i32 s2, s2, 1
	s_delay_alu instid0(SALU_CYCLE_1)
	s_cmp_eq_u32 s5, s2
	v_cndmask_b32_e32 v6, v6, v14, vcc_lo
	v_add_co_u32 v2, vcc_lo, v2, 4
	v_add_co_ci_u32_e32 v3, vcc_lo, 0, v3, vcc_lo
	s_cbranch_scc1 .LBB16_35
.LBB16_13:                              ; =>This Inner Loop Header: Depth=1
	s_waitcnt lgkmcnt(0)
	ds_bpermute_b32 v17, v9, v8
	ds_bpermute_b32 v18, v9, v4
	s_mov_b32 s8, exec_lo
                                        ; implicit-def: $vgpr16
	s_waitcnt lgkmcnt(1)
	v_cmp_lt_f32_e64 s3, v8, v17
	v_cmpx_nlt_f32_e32 v8, v17
	s_cbranch_execz .LBB16_15
; %bb.14:                               ;   in Loop: Header=BB16_13 Depth=1
	v_cmp_eq_f32_e32 vcc_lo, v8, v17
	s_waitcnt lgkmcnt(0)
	v_cmp_lt_i32_e64 s0, v18, v4
	v_mov_b32_e32 v16, v8
	s_and_not1_b32 s3, s3, exec_lo
	s_delay_alu instid0(VALU_DEP_2) | instskip(NEXT) | instid1(SALU_CYCLE_1)
	s_and_b32 s0, vcc_lo, s0
	s_and_b32 s0, s0, exec_lo
	s_delay_alu instid0(SALU_CYCLE_1)
	s_or_b32 s3, s3, s0
.LBB16_15:                              ;   in Loop: Header=BB16_13 Depth=1
	s_or_b32 exec_lo, exec_lo, s8
	v_mov_b32_e32 v14, v8
	v_mov_b32_e32 v15, v4
	s_and_saveexec_b32 s0, s3
	s_cbranch_execz .LBB16_17
; %bb.16:                               ;   in Loop: Header=BB16_13 Depth=1
	s_waitcnt lgkmcnt(0)
	v_dual_mov_b32 v16, v17 :: v_dual_mov_b32 v15, v18
	v_mov_b32_e32 v14, v17
.LBB16_17:                              ;   in Loop: Header=BB16_13 Depth=1
	s_or_b32 exec_lo, exec_lo, s0
	ds_bpermute_b32 v17, v10, v16
	s_waitcnt lgkmcnt(1)
	ds_bpermute_b32 v18, v10, v15
	s_mov_b32 s8, exec_lo
	s_waitcnt lgkmcnt(1)
	v_cmp_lt_f32_e64 s3, v14, v17
	v_cmpx_nlt_f32_e32 v14, v17
	s_cbranch_execz .LBB16_19
; %bb.18:                               ;   in Loop: Header=BB16_13 Depth=1
	v_cmp_eq_f32_e32 vcc_lo, v14, v17
	s_waitcnt lgkmcnt(0)
	v_cmp_lt_i32_e64 s0, v18, v15
	s_and_not1_b32 s3, s3, exec_lo
	s_delay_alu instid0(VALU_DEP_1) | instskip(NEXT) | instid1(SALU_CYCLE_1)
	s_and_b32 s0, vcc_lo, s0
	s_and_b32 s0, s0, exec_lo
	s_delay_alu instid0(SALU_CYCLE_1)
	s_or_b32 s3, s3, s0
.LBB16_19:                              ;   in Loop: Header=BB16_13 Depth=1
	s_or_b32 exec_lo, exec_lo, s8
	s_delay_alu instid0(VALU_DEP_2)
	s_and_saveexec_b32 s0, s3
	s_cbranch_execz .LBB16_21
; %bb.20:                               ;   in Loop: Header=BB16_13 Depth=1
	s_waitcnt lgkmcnt(0)
	v_dual_mov_b32 v16, v17 :: v_dual_mov_b32 v15, v18
	v_mov_b32_e32 v14, v17
.LBB16_21:                              ;   in Loop: Header=BB16_13 Depth=1
	s_or_b32 exec_lo, exec_lo, s0
	ds_bpermute_b32 v17, v11, v16
	s_waitcnt lgkmcnt(1)
	ds_bpermute_b32 v18, v11, v15
	s_mov_b32 s8, exec_lo
	s_waitcnt lgkmcnt(1)
	v_cmp_lt_f32_e64 s3, v14, v17
	v_cmpx_nlt_f32_e32 v14, v17
	s_cbranch_execz .LBB16_23
; %bb.22:                               ;   in Loop: Header=BB16_13 Depth=1
	v_cmp_eq_f32_e32 vcc_lo, v14, v17
	s_waitcnt lgkmcnt(0)
	v_cmp_lt_i32_e64 s0, v18, v15
	s_and_not1_b32 s3, s3, exec_lo
	s_delay_alu instid0(VALU_DEP_1) | instskip(NEXT) | instid1(SALU_CYCLE_1)
	s_and_b32 s0, vcc_lo, s0
	s_and_b32 s0, s0, exec_lo
	s_delay_alu instid0(SALU_CYCLE_1)
	s_or_b32 s3, s3, s0
.LBB16_23:                              ;   in Loop: Header=BB16_13 Depth=1
	s_or_b32 exec_lo, exec_lo, s8
	s_delay_alu instid0(VALU_DEP_2)
	;; [unrolled: 29-line block ×3, first 2 shown]
	s_and_saveexec_b32 s0, s3
	s_cbranch_execz .LBB16_29
; %bb.28:                               ;   in Loop: Header=BB16_13 Depth=1
	s_waitcnt lgkmcnt(0)
	v_dual_mov_b32 v16, v17 :: v_dual_mov_b32 v15, v18
	v_mov_b32_e32 v14, v17
.LBB16_29:                              ;   in Loop: Header=BB16_13 Depth=1
	s_or_b32 exec_lo, exec_lo, s0
	ds_bpermute_b32 v16, v13, v16
	ds_bpermute_b32 v17, v13, v15
	s_mov_b32 s8, exec_lo
	s_waitcnt lgkmcnt(1)
	v_cmp_lt_f32_e64 s3, v14, v16
	v_cmpx_nlt_f32_e32 v14, v16
	s_cbranch_execz .LBB16_31
; %bb.30:                               ;   in Loop: Header=BB16_13 Depth=1
	v_cmp_eq_f32_e32 vcc_lo, v14, v16
	s_waitcnt lgkmcnt(0)
	v_cmp_lt_i32_e64 s0, v17, v15
	s_and_not1_b32 s3, s3, exec_lo
	s_delay_alu instid0(VALU_DEP_1) | instskip(NEXT) | instid1(SALU_CYCLE_1)
	s_and_b32 s0, vcc_lo, s0
	s_and_b32 s0, s0, exec_lo
	s_delay_alu instid0(SALU_CYCLE_1)
	s_or_b32 s3, s3, s0
.LBB16_31:                              ;   in Loop: Header=BB16_13 Depth=1
	s_or_b32 exec_lo, exec_lo, s8
	s_delay_alu instid0(VALU_DEP_2)
	s_and_saveexec_b32 s0, s3
	s_cbranch_execz .LBB16_33
; %bb.32:                               ;   in Loop: Header=BB16_13 Depth=1
	s_waitcnt lgkmcnt(0)
	v_dual_mov_b32 v14, v16 :: v_dual_mov_b32 v15, v17
.LBB16_33:                              ;   in Loop: Header=BB16_13 Depth=1
	s_or_b32 exec_lo, exec_lo, s0
	s_delay_alu instid0(VALU_DEP_1) | instskip(NEXT) | instid1(VALU_DEP_1)
	v_and_b32_e32 v16, 31, v15
	v_cmp_eq_u32_e32 vcc_lo, v16, v4
	s_and_saveexec_b32 s0, vcc_lo
	s_cbranch_execz .LBB16_12
; %bb.34:                               ;   in Loop: Header=BB16_13 Depth=1
	v_add_f32_e32 v16, v7, v14
	global_store_b32 v[2:3], v15, off
	v_cndmask_b32_e64 v7, v7, v16, s4
	s_branch .LBB16_12
.LBB16_35:
	s_and_b32 vcc_lo, exec_lo, s4
	s_cbranch_vccnz .LBB16_40
; %bb.36:
	v_cmp_gt_i32_e64 s0, s5, v4
	s_and_not1_b32 vcc_lo, exec_lo, s1
	s_cbranch_vccz .LBB16_41
.LBB16_37:
	v_cmp_gt_i32_e32 vcc_lo, s5, v4
	s_and_b32 exec_lo, exec_lo, vcc_lo
	s_cbranch_execz .LBB16_39
.LBB16_38:
	v_mul_lo_u32 v1, v1, s5
	s_delay_alu instid0(VALU_DEP_1) | instskip(NEXT) | instid1(VALU_DEP_1)
	v_ashrrev_i32_e32 v2, 31, v1
	v_lshlrev_b64 v[1:2], 2, v[1:2]
	s_delay_alu instid0(VALU_DEP_1) | instskip(NEXT) | instid1(VALU_DEP_2)
	v_add_co_u32 v1, vcc_lo, s10, v1
	v_add_co_ci_u32_e32 v2, vcc_lo, s11, v2, vcc_lo
	s_delay_alu instid0(VALU_DEP_2) | instskip(NEXT) | instid1(VALU_DEP_2)
	v_add_co_u32 v0, vcc_lo, v1, v0
	v_add_co_ci_u32_e32 v1, vcc_lo, 0, v2, vcc_lo
	v_mul_f32_e32 v2, s7, v6
	global_store_b32 v[0:1], v2, off
.LBB16_39:
	s_nop 0
	s_sendmsg sendmsg(MSG_DEALLOC_VGPRS)
	s_endpgm
.LBB16_40:
	v_xor_b32_e32 v2, 16, v5
	v_xor_b32_e32 v3, 8, v5
	s_delay_alu instid0(VALU_DEP_2) | instskip(SKIP_1) | instid1(VALU_DEP_3)
	v_cmp_gt_i32_e32 vcc_lo, 32, v2
	v_cndmask_b32_e32 v2, v5, v2, vcc_lo
	v_cmp_gt_i32_e32 vcc_lo, 32, v3
	v_cndmask_b32_e32 v3, v5, v3, vcc_lo
	s_delay_alu instid0(VALU_DEP_1) | instskip(NEXT) | instid1(VALU_DEP_4)
	v_lshlrev_b32_e32 v3, 2, v3
	v_lshlrev_b32_e32 v2, 2, v2
	ds_bpermute_b32 v2, v2, v7
	s_waitcnt lgkmcnt(0)
	v_add_f32_e32 v2, v7, v2
	v_xor_b32_e32 v7, 4, v5
	ds_bpermute_b32 v3, v3, v2
	v_cmp_gt_i32_e32 vcc_lo, 32, v7
	v_cndmask_b32_e32 v7, v5, v7, vcc_lo
	s_delay_alu instid0(VALU_DEP_1) | instskip(SKIP_4) | instid1(VALU_DEP_1)
	v_lshlrev_b32_e32 v7, 2, v7
	s_waitcnt lgkmcnt(0)
	v_add_f32_e32 v2, v2, v3
	ds_bpermute_b32 v3, v7, v2
	v_xor_b32_e32 v7, 2, v5
	v_cmp_gt_i32_e32 vcc_lo, 32, v7
	v_cndmask_b32_e32 v7, v5, v7, vcc_lo
	s_delay_alu instid0(VALU_DEP_1) | instskip(SKIP_4) | instid1(VALU_DEP_1)
	v_lshlrev_b32_e32 v7, 2, v7
	s_waitcnt lgkmcnt(0)
	v_add_f32_e32 v2, v2, v3
	ds_bpermute_b32 v3, v7, v2
	v_xor_b32_e32 v7, 1, v5
	v_cmp_gt_i32_e32 vcc_lo, 32, v7
	v_cndmask_b32_e32 v7, v5, v7, vcc_lo
	s_delay_alu instid0(VALU_DEP_1)
	v_lshlrev_b32_e32 v7, 2, v7
	s_waitcnt lgkmcnt(0)
	v_add_f32_e32 v2, v2, v3
	ds_bpermute_b32 v3, v7, v2
	v_max_f32_e64 v7, s6, s6
	s_waitcnt lgkmcnt(0)
	v_add_f32_e32 v2, v2, v3
	s_delay_alu instid0(VALU_DEP_1) | instskip(NEXT) | instid1(VALU_DEP_1)
	v_max_f32_e32 v2, v2, v7
	v_div_scale_f32 v3, null, v2, v2, 1.0
	s_delay_alu instid0(VALU_DEP_1) | instskip(SKIP_3) | instid1(VALU_DEP_1)
	v_rcp_f32_e32 v7, v3
	s_waitcnt vmcnt(0)
	s_waitcnt_depctr 0xfff
	v_fma_f32 v8, -v3, v7, 1.0
	v_fmac_f32_e32 v7, v8, v7
	v_div_scale_f32 v8, vcc_lo, 1.0, v2, 1.0
	s_delay_alu instid0(VALU_DEP_1) | instskip(NEXT) | instid1(VALU_DEP_1)
	v_mul_f32_e32 v9, v8, v7
	v_fma_f32 v10, -v3, v9, v8
	s_delay_alu instid0(VALU_DEP_1) | instskip(NEXT) | instid1(VALU_DEP_1)
	v_fmac_f32_e32 v9, v10, v7
	v_fma_f32 v3, -v3, v9, v8
	s_delay_alu instid0(VALU_DEP_1) | instskip(NEXT) | instid1(VALU_DEP_1)
	v_div_fmas_f32 v3, v3, v7, v9
	v_div_fixup_f32 v2, v3, v2, 1.0
	s_delay_alu instid0(VALU_DEP_1)
	v_mul_f32_e32 v6, v6, v2
	v_cmp_gt_i32_e64 s0, s5, v4
	s_and_not1_b32 vcc_lo, exec_lo, s1
	s_cbranch_vccnz .LBB16_37
.LBB16_41:
	v_xor_b32_e32 v3, 16, v5
	s_waitcnt vmcnt(0)
	v_xor_b32_e32 v8, 8, v5
	v_xor_b32_e32 v9, 4, v5
	;; [unrolled: 1-line block ×4, first 2 shown]
	v_cmp_gt_i32_e32 vcc_lo, 32, v3
	v_dual_max_f32 v2, v6, v6 :: v_dual_cndmask_b32 v3, v5, v3
	s_delay_alu instid0(VALU_DEP_1) | instskip(SKIP_1) | instid1(VALU_DEP_3)
	v_max_f32_e32 v2, 0xff800000, v2
	v_cmp_gt_i32_e32 vcc_lo, 32, v8
	v_lshlrev_b32_e32 v3, 2, v3
	s_delay_alu instid0(VALU_DEP_3)
	v_cndmask_b32_e64 v2, 0xff800000, v2, s0
	ds_bpermute_b32 v7, v3, v2
	v_cndmask_b32_e32 v8, v5, v8, vcc_lo
	v_cmp_gt_i32_e32 vcc_lo, 32, v9
	v_cndmask_b32_e32 v9, v5, v9, vcc_lo
	v_cmp_gt_i32_e32 vcc_lo, 32, v10
	s_delay_alu instid0(VALU_DEP_2) | instskip(SKIP_1) | instid1(VALU_DEP_2)
	v_dual_cndmask_b32 v10, v5, v10 :: v_dual_lshlrev_b32 v9, 2, v9
	v_cmp_gt_i32_e32 vcc_lo, 32, v11
	v_dual_cndmask_b32 v5, v5, v11 :: v_dual_lshlrev_b32 v10, 2, v10
	s_waitcnt lgkmcnt(0)
	v_dual_max_f32 v7, v7, v7 :: v_dual_lshlrev_b32 v8, 2, v8
	s_delay_alu instid0(VALU_DEP_1) | instskip(SKIP_3) | instid1(VALU_DEP_1)
	v_dual_max_f32 v2, v2, v7 :: v_dual_lshlrev_b32 v5, 2, v5
	ds_bpermute_b32 v7, v8, v2
	s_waitcnt lgkmcnt(0)
	v_max_f32_e32 v7, v7, v7
	v_max_f32_e32 v2, v2, v7
	ds_bpermute_b32 v7, v9, v2
	s_waitcnt lgkmcnt(0)
	v_max_f32_e32 v7, v7, v7
	s_delay_alu instid0(VALU_DEP_1) | instskip(SKIP_3) | instid1(VALU_DEP_1)
	v_max_f32_e32 v2, v2, v7
	ds_bpermute_b32 v7, v10, v2
	s_waitcnt lgkmcnt(0)
	v_max_f32_e32 v7, v7, v7
	v_max_f32_e32 v2, v2, v7
	ds_bpermute_b32 v7, v5, v2
	s_waitcnt lgkmcnt(0)
	v_max_f32_e32 v7, v7, v7
	s_delay_alu instid0(VALU_DEP_1) | instskip(NEXT) | instid1(VALU_DEP_1)
	v_max_f32_e32 v2, v2, v7
	v_sub_f32_e32 v2, v6, v2
	s_delay_alu instid0(VALU_DEP_1) | instskip(SKIP_1) | instid1(VALU_DEP_2)
	v_mul_f32_e32 v6, 0x3fb8aa3b, v2
	v_cmp_ngt_f32_e32 vcc_lo, 0xc2ce8ed0, v2
	v_fma_f32 v7, 0x3fb8aa3b, v2, -v6
	v_rndne_f32_e32 v11, v6
	s_delay_alu instid0(VALU_DEP_2) | instskip(NEXT) | instid1(VALU_DEP_2)
	v_fmamk_f32 v7, v2, 0x32a5705f, v7
	v_sub_f32_e32 v6, v6, v11
	s_delay_alu instid0(VALU_DEP_1) | instskip(SKIP_1) | instid1(VALU_DEP_2)
	v_add_f32_e32 v6, v6, v7
	v_cvt_i32_f32_e32 v7, v11
	v_exp_f32_e32 v6, v6
	s_waitcnt_depctr 0xfff
	v_ldexp_f32 v6, v6, v7
	s_delay_alu instid0(VALU_DEP_1) | instskip(SKIP_1) | instid1(VALU_DEP_2)
	v_cndmask_b32_e32 v6, 0, v6, vcc_lo
	v_cmp_nlt_f32_e32 vcc_lo, 0x42b17218, v2
	v_cndmask_b32_e32 v2, 0x7f800000, v6, vcc_lo
	s_delay_alu instid0(VALU_DEP_1)
	v_cndmask_b32_e64 v6, 0, v2, s0
	ds_bpermute_b32 v3, v3, v6
	s_waitcnt lgkmcnt(0)
	v_add_f32_e32 v3, v6, v3
	ds_bpermute_b32 v6, v8, v3
	s_waitcnt lgkmcnt(0)
	v_add_f32_e32 v3, v3, v6
	;; [unrolled: 3-line block ×3, first 2 shown]
	ds_bpermute_b32 v6, v10, v3
	s_waitcnt lgkmcnt(0)
	v_dual_add_f32 v3, v3, v6 :: v_dual_mov_b32 v6, 0
	ds_bpermute_b32 v5, v5, v3
	s_and_saveexec_b32 s1, s0
	s_cbranch_execz .LBB16_43
; %bb.42:
	s_waitcnt lgkmcnt(0)
	v_add_f32_e32 v3, v3, v5
	s_delay_alu instid0(VALU_DEP_1) | instskip(NEXT) | instid1(VALU_DEP_1)
	v_div_scale_f32 v5, null, v3, v3, 1.0
	v_rcp_f32_e32 v6, v5
	s_waitcnt_depctr 0xfff
	v_fma_f32 v7, -v5, v6, 1.0
	s_delay_alu instid0(VALU_DEP_1) | instskip(SKIP_1) | instid1(VALU_DEP_1)
	v_fmac_f32_e32 v6, v7, v6
	v_div_scale_f32 v7, vcc_lo, 1.0, v3, 1.0
	v_mul_f32_e32 v8, v7, v6
	s_delay_alu instid0(VALU_DEP_1) | instskip(NEXT) | instid1(VALU_DEP_1)
	v_fma_f32 v9, -v5, v8, v7
	v_fmac_f32_e32 v8, v9, v6
	s_delay_alu instid0(VALU_DEP_1) | instskip(NEXT) | instid1(VALU_DEP_1)
	v_fma_f32 v5, -v5, v8, v7
	v_div_fmas_f32 v5, v5, v6, v8
	s_delay_alu instid0(VALU_DEP_1) | instskip(NEXT) | instid1(VALU_DEP_1)
	v_div_fixup_f32 v3, v5, v3, 1.0
	v_mul_f32_e32 v6, v2, v3
.LBB16_43:
	s_or_b32 exec_lo, exec_lo, s1
	v_cmp_gt_i32_e32 vcc_lo, s5, v4
	s_and_b32 exec_lo, exec_lo, vcc_lo
	s_cbranch_execnz .LBB16_38
	s_branch .LBB16_39
	.section	.rodata,"a",@progbits
	.p2align	6, 0x0
	.amdhsa_kernel _Z13topk_moe_cudaILi32ELb0EEvPKfPfPiS2_iiff15topk_moe_config
		.amdhsa_group_segment_fixed_size 0
		.amdhsa_private_segment_fixed_size 0
		.amdhsa_kernarg_size 312
		.amdhsa_user_sgpr_count 15
		.amdhsa_user_sgpr_dispatch_ptr 0
		.amdhsa_user_sgpr_queue_ptr 0
		.amdhsa_user_sgpr_kernarg_segment_ptr 1
		.amdhsa_user_sgpr_dispatch_id 0
		.amdhsa_user_sgpr_private_segment_size 0
		.amdhsa_wavefront_size32 1
		.amdhsa_uses_dynamic_stack 0
		.amdhsa_enable_private_segment 0
		.amdhsa_system_sgpr_workgroup_id_x 1
		.amdhsa_system_sgpr_workgroup_id_y 0
		.amdhsa_system_sgpr_workgroup_id_z 0
		.amdhsa_system_sgpr_workgroup_info 0
		.amdhsa_system_vgpr_workitem_id 1
		.amdhsa_next_free_vgpr 19
		.amdhsa_next_free_sgpr 16
		.amdhsa_reserve_vcc 1
		.amdhsa_float_round_mode_32 0
		.amdhsa_float_round_mode_16_64 0
		.amdhsa_float_denorm_mode_32 3
		.amdhsa_float_denorm_mode_16_64 3
		.amdhsa_dx10_clamp 1
		.amdhsa_ieee_mode 1
		.amdhsa_fp16_overflow 0
		.amdhsa_workgroup_processor_mode 1
		.amdhsa_memory_ordered 1
		.amdhsa_forward_progress 0
		.amdhsa_shared_vgpr_count 0
		.amdhsa_exception_fp_ieee_invalid_op 0
		.amdhsa_exception_fp_denorm_src 0
		.amdhsa_exception_fp_ieee_div_zero 0
		.amdhsa_exception_fp_ieee_overflow 0
		.amdhsa_exception_fp_ieee_underflow 0
		.amdhsa_exception_fp_ieee_inexact 0
		.amdhsa_exception_int_div_zero 0
	.end_amdhsa_kernel
	.section	.text._Z13topk_moe_cudaILi32ELb0EEvPKfPfPiS2_iiff15topk_moe_config,"axG",@progbits,_Z13topk_moe_cudaILi32ELb0EEvPKfPfPiS2_iiff15topk_moe_config,comdat
.Lfunc_end16:
	.size	_Z13topk_moe_cudaILi32ELb0EEvPKfPfPiS2_iiff15topk_moe_config, .Lfunc_end16-_Z13topk_moe_cudaILi32ELb0EEvPKfPfPiS2_iiff15topk_moe_config
                                        ; -- End function
	.section	.AMDGPU.csdata,"",@progbits
; Kernel info:
; codeLenInByte = 2888
; NumSgprs: 18
; NumVgprs: 19
; ScratchSize: 0
; MemoryBound: 0
; FloatMode: 240
; IeeeMode: 1
; LDSByteSize: 0 bytes/workgroup (compile time only)
; SGPRBlocks: 2
; VGPRBlocks: 2
; NumSGPRsForWavesPerEU: 18
; NumVGPRsForWavesPerEU: 19
; Occupancy: 16
; WaveLimiterHint : 0
; COMPUTE_PGM_RSRC2:SCRATCH_EN: 0
; COMPUTE_PGM_RSRC2:USER_SGPR: 15
; COMPUTE_PGM_RSRC2:TRAP_HANDLER: 0
; COMPUTE_PGM_RSRC2:TGID_X_EN: 1
; COMPUTE_PGM_RSRC2:TGID_Y_EN: 0
; COMPUTE_PGM_RSRC2:TGID_Z_EN: 0
; COMPUTE_PGM_RSRC2:TIDIG_COMP_CNT: 1
	.section	.text._Z13topk_moe_cudaILi64ELb0EEvPKfPfPiS2_iiff15topk_moe_config,"axG",@progbits,_Z13topk_moe_cudaILi64ELb0EEvPKfPfPiS2_iiff15topk_moe_config,comdat
	.protected	_Z13topk_moe_cudaILi64ELb0EEvPKfPfPiS2_iiff15topk_moe_config ; -- Begin function _Z13topk_moe_cudaILi64ELb0EEvPKfPfPiS2_iiff15topk_moe_config
	.globl	_Z13topk_moe_cudaILi64ELb0EEvPKfPfPiS2_iiff15topk_moe_config
	.p2align	8
	.type	_Z13topk_moe_cudaILi64ELb0EEvPKfPfPiS2_iiff15topk_moe_config,@function
_Z13topk_moe_cudaILi64ELb0EEvPKfPfPiS2_iiff15topk_moe_config: ; @_Z13topk_moe_cudaILi64ELb0EEvPKfPfPiS2_iiff15topk_moe_config
; %bb.0:
	s_clause 0x1
	s_load_b32 s2, s[0:1], 0x44
	s_load_b128 s[4:7], s[0:1], 0x20
	v_bfe_u32 v3, v0, 10, 10
	s_waitcnt lgkmcnt(0)
	s_lshr_b32 s2, s2, 16
	s_delay_alu instid0(VALU_DEP_1) | instid1(SALU_CYCLE_1)
	v_mad_u64_u32 v[1:2], null, s15, s2, v[3:4]
	s_mov_b32 s2, exec_lo
	s_delay_alu instid0(VALU_DEP_1)
	v_cmpx_gt_i32_e64 s4, v1
	s_cbranch_execz .LBB17_46
; %bb.1:
	s_clause 0x1
	s_load_b128 s[8:11], s[0:1], 0x0
	s_load_b64 s[2:3], s[0:1], 0x10
	v_dual_mov_b32 v7, 0 :: v_dual_lshlrev_b32 v2, 6, v1
	v_and_b32_e32 v8, 0x3ff, v0
	s_delay_alu instid0(VALU_DEP_2) | instskip(NEXT) | instid1(VALU_DEP_2)
	v_ashrrev_i32_e32 v3, 31, v2
	v_lshlrev_b32_e32 v0, 2, v8
	s_delay_alu instid0(VALU_DEP_2) | instskip(SKIP_1) | instid1(VALU_DEP_1)
	v_lshlrev_b64 v[2:3], 2, v[2:3]
	s_waitcnt lgkmcnt(0)
	v_add_co_u32 v4, vcc_lo, s8, v2
	s_delay_alu instid0(VALU_DEP_2) | instskip(NEXT) | instid1(VALU_DEP_2)
	v_add_co_ci_u32_e32 v6, vcc_lo, s9, v3, vcc_lo
	v_add_co_u32 v5, vcc_lo, v4, v0
	s_delay_alu instid0(VALU_DEP_2)
	v_add_co_ci_u32_e32 v6, vcc_lo, 0, v6, vcc_lo
	global_load_u16 v9, v7, s[0:1] offset:48
	s_clause 0x1
	global_load_b32 v4, v[5:6], off
	global_load_b32 v5, v[5:6], off offset:128
	s_load_b32 s0, s[0:1], 0x30
	s_waitcnt lgkmcnt(0)
	s_bitcmp1_b32 s0, 16
	s_cselect_b32 s4, -1, 0
	s_delay_alu instid0(SALU_CYCLE_1)
	s_and_b32 vcc_lo, exec_lo, s4
	s_cbranch_vccnz .LBB17_4
; %bb.2:
	s_waitcnt vmcnt(2)
	v_and_b32_e32 v6, 1, v9
	s_delay_alu instid0(VALU_DEP_1)
	v_cmp_eq_u32_e32 vcc_lo, 0, v6
	s_cbranch_vccz .LBB17_5
; %bb.3:
	v_mbcnt_lo_u32_b32 v6, -1, 0
	s_waitcnt vmcnt(0)
	v_max3_f32 v10, v4, 0xff800000, v5
	s_delay_alu instid0(VALU_DEP_2)
	v_xor_b32_e32 v7, 16, v6
	v_xor_b32_e32 v12, 8, v6
	;; [unrolled: 1-line block ×5, first 2 shown]
	v_cmp_gt_i32_e32 vcc_lo, 32, v7
	v_cndmask_b32_e32 v7, v6, v7, vcc_lo
	v_cmp_gt_i32_e32 vcc_lo, 32, v12
	v_cndmask_b32_e32 v12, v6, v12, vcc_lo
	v_cmp_gt_i32_e32 vcc_lo, 32, v13
	s_delay_alu instid0(VALU_DEP_2)
	v_dual_cndmask_b32 v13, v6, v13 :: v_dual_lshlrev_b32 v12, 2, v12
	v_cmp_gt_i32_e32 vcc_lo, 32, v14
	v_dual_cndmask_b32 v14, v6, v14 :: v_dual_lshlrev_b32 v7, 2, v7
	ds_bpermute_b32 v11, v7, v10
	v_cmp_gt_i32_e32 vcc_lo, 32, v15
	v_lshlrev_b32_e32 v14, 2, v14
	v_dual_cndmask_b32 v6, v6, v15 :: v_dual_lshlrev_b32 v13, 2, v13
	s_waitcnt lgkmcnt(0)
	s_delay_alu instid0(VALU_DEP_1) | instskip(NEXT) | instid1(VALU_DEP_1)
	v_dual_max_f32 v11, v11, v11 :: v_dual_lshlrev_b32 v6, 2, v6
	v_max_f32_e32 v10, v10, v11
	ds_bpermute_b32 v11, v12, v10
	s_waitcnt lgkmcnt(0)
	v_max_f32_e32 v11, v11, v11
	s_delay_alu instid0(VALU_DEP_1) | instskip(SKIP_3) | instid1(VALU_DEP_1)
	v_max_f32_e32 v10, v10, v11
	ds_bpermute_b32 v11, v13, v10
	s_waitcnt lgkmcnt(0)
	v_max_f32_e32 v11, v11, v11
	v_max_f32_e32 v10, v10, v11
	ds_bpermute_b32 v11, v14, v10
	s_waitcnt lgkmcnt(0)
	v_max_f32_e32 v11, v11, v11
	s_delay_alu instid0(VALU_DEP_1) | instskip(SKIP_3) | instid1(VALU_DEP_1)
	v_max_f32_e32 v10, v10, v11
	ds_bpermute_b32 v11, v6, v10
	s_waitcnt lgkmcnt(0)
	v_max_f32_e32 v11, v11, v11
	v_max_f32_e32 v10, v10, v11
	s_delay_alu instid0(VALU_DEP_1) | instskip(NEXT) | instid1(VALU_DEP_1)
	v_sub_f32_e32 v11, v4, v10
	v_dual_sub_f32 v10, v5, v10 :: v_dual_mul_f32 v15, 0x3fb8aa3b, v11
	s_delay_alu instid0(VALU_DEP_1) | instskip(SKIP_1) | instid1(VALU_DEP_3)
	v_mul_f32_e32 v16, 0x3fb8aa3b, v10
	v_cmp_ngt_f32_e32 vcc_lo, 0xc2ce8ed0, v11
	v_fma_f32 v17, 0x3fb8aa3b, v11, -v15
	v_rndne_f32_e32 v18, v15
	s_delay_alu instid0(VALU_DEP_4) | instskip(SKIP_1) | instid1(VALU_DEP_4)
	v_fma_f32 v19, 0x3fb8aa3b, v10, -v16
	v_rndne_f32_e32 v20, v16
	v_fmac_f32_e32 v17, 0x32a5705f, v11
	s_delay_alu instid0(VALU_DEP_4) | instskip(NEXT) | instid1(VALU_DEP_3)
	v_sub_f32_e32 v15, v15, v18
	v_dual_fmac_f32 v19, 0x32a5705f, v10 :: v_dual_sub_f32 v16, v16, v20
	s_delay_alu instid0(VALU_DEP_2) | instskip(SKIP_1) | instid1(VALU_DEP_3)
	v_add_f32_e32 v15, v15, v17
	v_cvt_i32_f32_e32 v17, v18
	v_add_f32_e32 v16, v16, v19
	v_cvt_i32_f32_e32 v18, v20
	s_delay_alu instid0(VALU_DEP_4) | instskip(NEXT) | instid1(VALU_DEP_2)
	v_exp_f32_e32 v15, v15
	v_exp_f32_e32 v16, v16
	s_waitcnt_depctr 0xfff
	v_ldexp_f32 v15, v15, v17
	v_ldexp_f32 v16, v16, v18
	s_delay_alu instid0(VALU_DEP_2) | instskip(SKIP_1) | instid1(VALU_DEP_3)
	v_cndmask_b32_e32 v15, 0, v15, vcc_lo
	v_cmp_ngt_f32_e32 vcc_lo, 0xc2ce8ed0, v10
	v_cndmask_b32_e32 v16, 0, v16, vcc_lo
	v_cmp_nlt_f32_e32 vcc_lo, 0x42b17218, v11
	s_delay_alu instid0(VALU_DEP_4) | instskip(SKIP_1) | instid1(VALU_DEP_4)
	v_cndmask_b32_e32 v11, 0x7f800000, v15, vcc_lo
	v_cmp_nlt_f32_e32 vcc_lo, 0x42b17218, v10
	v_cndmask_b32_e32 v10, 0x7f800000, v16, vcc_lo
	s_delay_alu instid0(VALU_DEP_1)
	v_add_f32_e32 v15, v11, v10
	ds_bpermute_b32 v7, v7, v15
	s_waitcnt lgkmcnt(0)
	v_add_f32_e32 v7, v15, v7
	ds_bpermute_b32 v12, v12, v7
	s_waitcnt lgkmcnt(0)
	;; [unrolled: 3-line block ×5, first 2 shown]
	v_add_f32_e32 v6, v7, v6
	s_delay_alu instid0(VALU_DEP_1) | instskip(SKIP_1) | instid1(VALU_DEP_2)
	v_div_scale_f32 v7, null, v6, v6, 1.0
	v_div_scale_f32 v14, vcc_lo, 1.0, v6, 1.0
	v_rcp_f32_e32 v12, v7
	s_waitcnt_depctr 0xfff
	v_fma_f32 v13, -v7, v12, 1.0
	s_delay_alu instid0(VALU_DEP_1) | instskip(NEXT) | instid1(VALU_DEP_1)
	v_fmac_f32_e32 v12, v13, v12
	v_mul_f32_e32 v13, v14, v12
	s_delay_alu instid0(VALU_DEP_1) | instskip(NEXT) | instid1(VALU_DEP_1)
	v_fma_f32 v15, -v7, v13, v14
	v_fmac_f32_e32 v13, v15, v12
	s_delay_alu instid0(VALU_DEP_1) | instskip(NEXT) | instid1(VALU_DEP_1)
	v_fma_f32 v7, -v7, v13, v14
	v_div_fmas_f32 v7, v7, v12, v13
	s_delay_alu instid0(VALU_DEP_1) | instskip(NEXT) | instid1(VALU_DEP_1)
	v_div_fixup_f32 v7, v7, v6, 1.0
	v_mul_f32_e32 v6, v11, v7
	v_mul_f32_e32 v7, v10, v7
	s_cbranch_execz .LBB17_6
	s_branch .LBB17_7
.LBB17_4:
	s_waitcnt vmcnt(1)
	v_mov_b32_e32 v6, v4
	s_branch .LBB17_8
.LBB17_5:
                                        ; implicit-def: $vgpr6
.LBB17_6:
	s_waitcnt vmcnt(0)
	v_dual_mul_f32 v6, 0xbfb8aa3b, v4 :: v_dual_mul_f32 v7, 0xbfb8aa3b, v5
	v_cmp_nlt_f32_e32 vcc_lo, 0x42ce8ed0, v4
	s_delay_alu instid0(VALU_DEP_2) | instskip(SKIP_1) | instid1(VALU_DEP_4)
	v_rndne_f32_e32 v10, v6
	v_fma_f32 v11, 0xbfb8aa3b, v4, -v6
	v_rndne_f32_e32 v12, v7
	v_fma_f32 v13, 0xbfb8aa3b, v5, -v7
	s_delay_alu instid0(VALU_DEP_3) | instskip(NEXT) | instid1(VALU_DEP_3)
	v_dual_sub_f32 v6, v6, v10 :: v_dual_fmac_f32 v11, 0xb2a5705f, v4
	v_sub_f32_e32 v7, v7, v12
	v_cvt_i32_f32_e32 v10, v10
	s_delay_alu instid0(VALU_DEP_3) | instskip(SKIP_1) | instid1(VALU_DEP_2)
	v_add_f32_e32 v6, v6, v11
	v_cvt_i32_f32_e32 v11, v12
	v_exp_f32_e32 v6, v6
	s_waitcnt_depctr 0xfff
	v_ldexp_f32 v6, v6, v10
	s_delay_alu instid0(VALU_DEP_1) | instskip(NEXT) | instid1(VALU_DEP_1)
	v_dual_fmac_f32 v13, 0xb2a5705f, v5 :: v_dual_cndmask_b32 v6, 0, v6
	v_add_f32_e32 v7, v7, v13
	v_cmp_nlt_f32_e32 vcc_lo, 0x42ce8ed0, v5
	s_delay_alu instid0(VALU_DEP_2) | instskip(SKIP_2) | instid1(VALU_DEP_1)
	v_exp_f32_e32 v7, v7
	s_waitcnt_depctr 0xfff
	v_ldexp_f32 v7, v7, v11
	v_cndmask_b32_e32 v7, 0, v7, vcc_lo
	v_cmp_ngt_f32_e32 vcc_lo, 0xc2b17218, v4
	v_cndmask_b32_e32 v4, 0x7f800000, v6, vcc_lo
	v_cmp_ngt_f32_e32 vcc_lo, 0xc2b17218, v5
	s_delay_alu instid0(VALU_DEP_2) | instskip(NEXT) | instid1(VALU_DEP_1)
	v_add_f32_e32 v4, 1.0, v4
	v_div_scale_f32 v6, null, v4, v4, 1.0
	s_delay_alu instid0(VALU_DEP_1) | instskip(SKIP_4) | instid1(VALU_DEP_2)
	v_rcp_f32_e32 v10, v6
	s_waitcnt_depctr 0xfff
	v_fma_f32 v12, -v6, v10, 1.0
	v_cndmask_b32_e32 v5, 0x7f800000, v7, vcc_lo
	v_div_scale_f32 v14, vcc_lo, 1.0, v4, 1.0
	v_dual_fmac_f32 v10, v12, v10 :: v_dual_add_f32 v5, 1.0, v5
	s_delay_alu instid0(VALU_DEP_1) | instskip(SKIP_1) | instid1(VALU_DEP_2)
	v_div_scale_f32 v7, null, v5, v5, 1.0
	v_div_scale_f32 v12, s0, 1.0, v5, 1.0
	v_rcp_f32_e32 v11, v7
	s_waitcnt_depctr 0xfff
	v_fma_f32 v13, -v7, v11, 1.0
	s_delay_alu instid0(VALU_DEP_1) | instskip(SKIP_1) | instid1(VALU_DEP_2)
	v_fmac_f32_e32 v11, v13, v11
	v_mul_f32_e32 v13, v14, v10
	v_mul_f32_e32 v15, v12, v11
	s_delay_alu instid0(VALU_DEP_2) | instskip(NEXT) | instid1(VALU_DEP_2)
	v_fma_f32 v16, -v6, v13, v14
	v_fma_f32 v17, -v7, v15, v12
	s_delay_alu instid0(VALU_DEP_2) | instskip(NEXT) | instid1(VALU_DEP_2)
	v_fmac_f32_e32 v13, v16, v10
	v_fmac_f32_e32 v15, v17, v11
	s_delay_alu instid0(VALU_DEP_2) | instskip(NEXT) | instid1(VALU_DEP_2)
	v_fma_f32 v6, -v6, v13, v14
	v_fma_f32 v7, -v7, v15, v12
	s_delay_alu instid0(VALU_DEP_2) | instskip(SKIP_1) | instid1(VALU_DEP_2)
	v_div_fmas_f32 v6, v6, v10, v13
	s_mov_b32 vcc_lo, s0
	v_div_fmas_f32 v7, v7, v11, v15
	s_delay_alu instid0(VALU_DEP_2) | instskip(NEXT) | instid1(VALU_DEP_2)
	v_div_fixup_f32 v6, v6, v4, 1.0
	v_div_fixup_f32 v7, v7, v5, 1.0
.LBB17_7:
	s_waitcnt vmcnt(0)
	s_delay_alu instid0(VALU_DEP_1)
	v_dual_mov_b32 v4, v6 :: v_dual_mov_b32 v5, v7
.LBB17_8:
	v_lshrrev_b16 v7, 8, v9
	s_cmp_gt_i32 s5, 0
	s_delay_alu instid0(VALU_DEP_1)
	v_readfirstlane_b32 s0, v7
	s_cbranch_scc1 .LBB17_10
; %bb.9:
	s_delay_alu instid0(VALU_DEP_1)
	s_bitcmp1_b32 s0, 0
	s_mov_b32 s8, 0
	s_mov_b32 s9, 0
	s_cselect_b32 s1, -1, 0
	s_branch .LBB17_11
.LBB17_10:
	s_mov_b32 s8, -1
                                        ; implicit-def: $sgpr9
                                        ; implicit-def: $sgpr1
.LBB17_11:
	v_dual_mov_b32 v9, s9 :: v_dual_mov_b32 v12, s9
	v_add_nc_u32_e32 v7, 32, v8
	v_mbcnt_lo_u32_b32 v10, -1, 0
	v_mov_b32_e32 v11, s9
	s_and_not1_b32 vcc_lo, exec_lo, s8
	s_cbranch_vccnz .LBB17_38
; %bb.12:
	v_cmp_u_f32_e32 vcc_lo, v6, v6
	v_xor_b32_e32 v6, 16, v10
	v_xor_b32_e32 v9, 8, v10
	;; [unrolled: 1-line block ×4, first 2 shown]
	s_waitcnt vmcnt(0)
	v_cndmask_b32_e32 v5, v5, v5, vcc_lo
	v_cndmask_b32_e64 v4, v4, 0xff7fffff, vcc_lo
	v_add_co_u32 v2, vcc_lo, s2, v2
	v_add_co_ci_u32_e32 v3, vcc_lo, s3, v3, vcc_lo
	s_delay_alu instid0(VALU_DEP_4)
	v_cmp_o_f32_e32 vcc_lo, v5, v5
	v_xor_b32_e32 v13, 1, v10
	s_bitcmp1_b32 s0, 0
	s_mov_b32 s2, 0
	s_cselect_b32 s1, -1, 0
	v_cndmask_b32_e32 v5, 0xff7fffff, v5, vcc_lo
	v_cmp_gt_i32_e32 vcc_lo, 32, v6
	v_cndmask_b32_e32 v6, v10, v6, vcc_lo
	v_cmp_gt_i32_e32 vcc_lo, 32, v9
	s_delay_alu instid0(VALU_DEP_2)
	v_dual_cndmask_b32 v9, v10, v9 :: v_dual_lshlrev_b32 v6, 2, v6
	v_cmp_gt_i32_e32 vcc_lo, 32, v11
	v_cndmask_b32_e32 v11, v10, v11, vcc_lo
	v_cmp_gt_i32_e32 vcc_lo, 32, v12
	v_cndmask_b32_e32 v12, v10, v12, vcc_lo
	;; [unrolled: 2-line block ×3, first 2 shown]
	s_delay_alu instid0(VALU_DEP_1)
	v_lshlrev_b32_e32 v16, 2, v16
	v_lshlrev_b32_e32 v14, 2, v11
	;; [unrolled: 1-line block ×3, first 2 shown]
	v_dual_mov_b32 v12, 0 :: v_dual_lshlrev_b32 v15, 2, v12
	v_mov_b32_e32 v11, 0
	v_mov_b32_e32 v9, 0
	s_branch .LBB17_14
.LBB17_13:                              ;   in Loop: Header=BB17_14 Depth=1
	s_or_b32 exec_lo, exec_lo, s0
	s_lshr_b32 s0, s2, 5
	s_and_b32 s3, s2, 31
	s_cmp_eq_u32 s0, 1
	s_cselect_b32 vcc_lo, -1, 0
	s_cmp_eq_u32 s0, 0
	v_cndmask_b32_e32 v18, v9, v17, vcc_lo
	s_cselect_b32 vcc_lo, -1, 0
	s_add_i32 s2, s2, 1
	v_cndmask_b32_e32 v17, v11, v17, vcc_lo
	v_cmp_eq_u32_e32 vcc_lo, s3, v8
	s_cmp_eq_u32 s5, s2
	s_delay_alu instid0(VALU_DEP_2)
	v_cndmask_b32_e32 v11, v11, v17, vcc_lo
	v_cndmask_b32_e32 v9, v9, v18, vcc_lo
	v_add_co_u32 v2, vcc_lo, v2, 4
	v_add_co_ci_u32_e32 v3, vcc_lo, 0, v3, vcc_lo
	s_cbranch_scc1 .LBB17_38
.LBB17_14:                              ; =>This Inner Loop Header: Depth=1
	v_cmp_gt_f32_e32 vcc_lo, v5, v4
	s_mov_b32 s8, exec_lo
	v_cndmask_b32_e32 v17, v4, v5, vcc_lo
	v_cndmask_b32_e32 v18, v8, v7, vcc_lo
	ds_bpermute_b32 v19, v6, v17
	s_waitcnt lgkmcnt(1)
	ds_bpermute_b32 v20, v6, v18
	s_waitcnt lgkmcnt(1)
	v_cmp_lt_f32_e64 s3, v17, v19
	v_cmpx_nlt_f32_e32 v17, v19
	s_cbranch_execz .LBB17_16
; %bb.15:                               ;   in Loop: Header=BB17_14 Depth=1
	v_cmp_eq_f32_e32 vcc_lo, v17, v19
	s_waitcnt lgkmcnt(0)
	v_cmp_lt_i32_e64 s0, v20, v18
	s_and_not1_b32 s3, s3, exec_lo
	s_delay_alu instid0(VALU_DEP_1) | instskip(NEXT) | instid1(SALU_CYCLE_1)
	s_and_b32 s0, vcc_lo, s0
	s_and_b32 s0, s0, exec_lo
	s_delay_alu instid0(SALU_CYCLE_1)
	s_or_b32 s3, s3, s0
.LBB17_16:                              ;   in Loop: Header=BB17_14 Depth=1
	s_or_b32 exec_lo, exec_lo, s8
	s_delay_alu instid0(VALU_DEP_2)
	s_and_saveexec_b32 s0, s3
	s_cbranch_execz .LBB17_18
; %bb.17:                               ;   in Loop: Header=BB17_14 Depth=1
	s_waitcnt lgkmcnt(0)
	v_dual_mov_b32 v17, v19 :: v_dual_mov_b32 v18, v20
.LBB17_18:                              ;   in Loop: Header=BB17_14 Depth=1
	s_or_b32 exec_lo, exec_lo, s0
	s_waitcnt lgkmcnt(0)
	ds_bpermute_b32 v20, v13, v17
	ds_bpermute_b32 v19, v13, v18
	s_mov_b32 s8, exec_lo
	s_waitcnt lgkmcnt(1)
	v_cmp_lt_f32_e64 s3, v17, v20
	v_cmpx_nlt_f32_e32 v17, v20
	s_cbranch_execz .LBB17_20
; %bb.19:                               ;   in Loop: Header=BB17_14 Depth=1
	v_cmp_eq_f32_e32 vcc_lo, v17, v20
	s_waitcnt lgkmcnt(0)
	v_cmp_lt_i32_e64 s0, v19, v18
	s_and_not1_b32 s3, s3, exec_lo
	s_delay_alu instid0(VALU_DEP_1) | instskip(NEXT) | instid1(SALU_CYCLE_1)
	s_and_b32 s0, vcc_lo, s0
	s_and_b32 s0, s0, exec_lo
	s_delay_alu instid0(SALU_CYCLE_1)
	s_or_b32 s3, s3, s0
.LBB17_20:                              ;   in Loop: Header=BB17_14 Depth=1
	s_or_b32 exec_lo, exec_lo, s8
	s_delay_alu instid0(VALU_DEP_2)
	s_and_saveexec_b32 s0, s3
	s_cbranch_execz .LBB17_22
; %bb.21:                               ;   in Loop: Header=BB17_14 Depth=1
	s_waitcnt lgkmcnt(0)
	v_dual_mov_b32 v17, v20 :: v_dual_mov_b32 v18, v19
.LBB17_22:                              ;   in Loop: Header=BB17_14 Depth=1
	s_or_b32 exec_lo, exec_lo, s0
	ds_bpermute_b32 v20, v14, v17
	s_waitcnt lgkmcnt(1)
	ds_bpermute_b32 v19, v14, v18
	s_mov_b32 s8, exec_lo
	s_waitcnt lgkmcnt(1)
	v_cmp_lt_f32_e64 s3, v17, v20
	v_cmpx_nlt_f32_e32 v17, v20
	s_cbranch_execz .LBB17_24
; %bb.23:                               ;   in Loop: Header=BB17_14 Depth=1
	v_cmp_eq_f32_e32 vcc_lo, v17, v20
	s_waitcnt lgkmcnt(0)
	v_cmp_lt_i32_e64 s0, v19, v18
	s_and_not1_b32 s3, s3, exec_lo
	s_delay_alu instid0(VALU_DEP_1) | instskip(NEXT) | instid1(SALU_CYCLE_1)
	s_and_b32 s0, vcc_lo, s0
	s_and_b32 s0, s0, exec_lo
	s_delay_alu instid0(SALU_CYCLE_1)
	s_or_b32 s3, s3, s0
.LBB17_24:                              ;   in Loop: Header=BB17_14 Depth=1
	s_or_b32 exec_lo, exec_lo, s8
	s_delay_alu instid0(VALU_DEP_2)
	s_and_saveexec_b32 s0, s3
	s_cbranch_execz .LBB17_26
; %bb.25:                               ;   in Loop: Header=BB17_14 Depth=1
	s_waitcnt lgkmcnt(0)
	v_dual_mov_b32 v17, v20 :: v_dual_mov_b32 v18, v19
.LBB17_26:                              ;   in Loop: Header=BB17_14 Depth=1
	s_or_b32 exec_lo, exec_lo, s0
	ds_bpermute_b32 v20, v15, v17
	s_waitcnt lgkmcnt(1)
	ds_bpermute_b32 v19, v15, v18
	s_mov_b32 s8, exec_lo
	s_waitcnt lgkmcnt(1)
	v_cmp_lt_f32_e64 s3, v17, v20
	v_cmpx_nlt_f32_e32 v17, v20
	s_cbranch_execz .LBB17_28
; %bb.27:                               ;   in Loop: Header=BB17_14 Depth=1
	v_cmp_eq_f32_e32 vcc_lo, v17, v20
	s_waitcnt lgkmcnt(0)
	v_cmp_lt_i32_e64 s0, v19, v18
	s_and_not1_b32 s3, s3, exec_lo
	s_delay_alu instid0(VALU_DEP_1) | instskip(NEXT) | instid1(SALU_CYCLE_1)
	s_and_b32 s0, vcc_lo, s0
	s_and_b32 s0, s0, exec_lo
	s_delay_alu instid0(SALU_CYCLE_1)
	s_or_b32 s3, s3, s0
.LBB17_28:                              ;   in Loop: Header=BB17_14 Depth=1
	s_or_b32 exec_lo, exec_lo, s8
	s_delay_alu instid0(VALU_DEP_2)
	s_and_saveexec_b32 s0, s3
	s_cbranch_execz .LBB17_30
; %bb.29:                               ;   in Loop: Header=BB17_14 Depth=1
	s_waitcnt lgkmcnt(0)
	v_dual_mov_b32 v17, v20 :: v_dual_mov_b32 v18, v19
.LBB17_30:                              ;   in Loop: Header=BB17_14 Depth=1
	s_or_b32 exec_lo, exec_lo, s0
	s_waitcnt lgkmcnt(0)
	ds_bpermute_b32 v19, v16, v17
	ds_bpermute_b32 v20, v16, v18
	s_mov_b32 s8, exec_lo
	s_waitcnt lgkmcnt(1)
	v_cmp_lt_f32_e64 s3, v17, v19
	v_cmpx_nlt_f32_e32 v17, v19
	s_cbranch_execz .LBB17_32
; %bb.31:                               ;   in Loop: Header=BB17_14 Depth=1
	v_cmp_eq_f32_e32 vcc_lo, v17, v19
	s_waitcnt lgkmcnt(0)
	v_cmp_lt_i32_e64 s0, v20, v18
	s_and_not1_b32 s3, s3, exec_lo
	s_delay_alu instid0(VALU_DEP_1) | instskip(NEXT) | instid1(SALU_CYCLE_1)
	s_and_b32 s0, vcc_lo, s0
	s_and_b32 s0, s0, exec_lo
	s_delay_alu instid0(SALU_CYCLE_1)
	s_or_b32 s3, s3, s0
.LBB17_32:                              ;   in Loop: Header=BB17_14 Depth=1
	s_or_b32 exec_lo, exec_lo, s8
	s_delay_alu instid0(VALU_DEP_2)
	s_and_saveexec_b32 s0, s3
	s_cbranch_execz .LBB17_34
; %bb.33:                               ;   in Loop: Header=BB17_14 Depth=1
	s_waitcnt lgkmcnt(0)
	v_dual_mov_b32 v17, v19 :: v_dual_mov_b32 v18, v20
.LBB17_34:                              ;   in Loop: Header=BB17_14 Depth=1
	s_or_b32 exec_lo, exec_lo, s0
	s_delay_alu instid0(VALU_DEP_1) | instskip(NEXT) | instid1(VALU_DEP_1)
	v_and_b32_e32 v19, 31, v18
	v_cmp_eq_u32_e32 vcc_lo, v19, v8
	s_and_saveexec_b32 s3, vcc_lo
; %bb.35:                               ;   in Loop: Header=BB17_14 Depth=1
	v_ashrrev_i32_e32 v19, 31, v18
	s_delay_alu instid0(VALU_DEP_1) | instskip(NEXT) | instid1(VALU_DEP_1)
	v_lshrrev_b32_e32 v19, 27, v19
	v_add_nc_u32_e32 v19, v18, v19
	s_delay_alu instid0(VALU_DEP_1) | instskip(NEXT) | instid1(VALU_DEP_1)
	v_ashrrev_i32_e32 v19, 5, v19
	v_cmp_ne_u32_e64 s0, 1, v19
	s_delay_alu instid0(VALU_DEP_1) | instskip(SKIP_1) | instid1(VALU_DEP_1)
	v_cndmask_b32_e64 v5, 0xff800000, v5, s0
	v_cmp_ne_u32_e64 s0, 0, v19
	v_cndmask_b32_e64 v4, 0xff800000, v4, s0
; %bb.36:                               ;   in Loop: Header=BB17_14 Depth=1
	s_or_b32 exec_lo, exec_lo, s3
	s_and_saveexec_b32 s0, vcc_lo
	s_cbranch_execz .LBB17_13
; %bb.37:                               ;   in Loop: Header=BB17_14 Depth=1
	v_add_f32_e32 v19, v12, v17
	global_store_b32 v[2:3], v18, off
	v_cndmask_b32_e64 v12, v12, v19, s1
	s_branch .LBB17_13
.LBB17_38:
	s_and_b32 vcc_lo, exec_lo, s1
	s_cbranch_vccz .LBB17_40
; %bb.39:
	v_xor_b32_e32 v2, 16, v10
	v_xor_b32_e32 v3, 8, v10
	;; [unrolled: 1-line block ×3, first 2 shown]
	s_delay_alu instid0(VALU_DEP_3) | instskip(SKIP_1) | instid1(VALU_DEP_4)
	v_cmp_gt_i32_e32 vcc_lo, 32, v2
	v_cndmask_b32_e32 v2, v10, v2, vcc_lo
	v_cmp_gt_i32_e32 vcc_lo, 32, v3
	v_cndmask_b32_e32 v3, v10, v3, vcc_lo
	v_cmp_gt_i32_e32 vcc_lo, 32, v4
	s_delay_alu instid0(VALU_DEP_2)
	v_lshlrev_b32_e32 v3, 2, v3
	v_lshlrev_b32_e32 v2, 2, v2
	v_cndmask_b32_e32 v4, v10, v4, vcc_lo
	ds_bpermute_b32 v2, v2, v12
	v_lshlrev_b32_e32 v4, 2, v4
	s_waitcnt lgkmcnt(0)
	v_add_f32_e32 v2, v12, v2
	ds_bpermute_b32 v3, v3, v2
	s_waitcnt lgkmcnt(0)
	v_add_f32_e32 v2, v2, v3
	ds_bpermute_b32 v3, v4, v2
	v_xor_b32_e32 v4, 2, v10
	s_delay_alu instid0(VALU_DEP_1) | instskip(SKIP_1) | instid1(VALU_DEP_1)
	v_cmp_gt_i32_e32 vcc_lo, 32, v4
	v_cndmask_b32_e32 v4, v10, v4, vcc_lo
	v_lshlrev_b32_e32 v4, 2, v4
	s_waitcnt lgkmcnt(0)
	v_add_f32_e32 v2, v2, v3
	ds_bpermute_b32 v3, v4, v2
	v_xor_b32_e32 v4, 1, v10
	s_delay_alu instid0(VALU_DEP_1) | instskip(SKIP_1) | instid1(VALU_DEP_1)
	v_cmp_gt_i32_e32 vcc_lo, 32, v4
	v_cndmask_b32_e32 v4, v10, v4, vcc_lo
	v_lshlrev_b32_e32 v4, 2, v4
	s_waitcnt lgkmcnt(0)
	v_add_f32_e32 v2, v2, v3
	ds_bpermute_b32 v3, v4, v2
	v_max_f32_e64 v4, s6, s6
	s_waitcnt lgkmcnt(0)
	v_add_f32_e32 v2, v2, v3
	s_delay_alu instid0(VALU_DEP_1) | instskip(NEXT) | instid1(VALU_DEP_1)
	v_max_f32_e32 v2, v2, v4
	v_div_scale_f32 v3, null, v2, v2, 1.0
	v_div_scale_f32 v6, vcc_lo, 1.0, v2, 1.0
	s_delay_alu instid0(VALU_DEP_2) | instskip(SKIP_3) | instid1(VALU_DEP_1)
	v_rcp_f32_e32 v4, v3
	s_waitcnt vmcnt(0)
	s_waitcnt_depctr 0xfff
	v_fma_f32 v5, -v3, v4, 1.0
	v_fmac_f32_e32 v4, v5, v4
	s_delay_alu instid0(VALU_DEP_1) | instskip(NEXT) | instid1(VALU_DEP_1)
	v_mul_f32_e32 v5, v6, v4
	v_fma_f32 v12, -v3, v5, v6
	s_delay_alu instid0(VALU_DEP_1) | instskip(NEXT) | instid1(VALU_DEP_1)
	v_fmac_f32_e32 v5, v12, v4
	v_fma_f32 v3, -v3, v5, v6
	s_delay_alu instid0(VALU_DEP_1) | instskip(NEXT) | instid1(VALU_DEP_1)
	v_div_fmas_f32 v3, v3, v4, v5
	v_div_fixup_f32 v2, v3, v2, 1.0
	s_delay_alu instid0(VALU_DEP_1)
	v_mul_f32_e32 v9, v2, v9
	v_mul_f32_e32 v11, v2, v11
.LBB17_40:
	v_cmp_gt_i32_e64 s0, s5, v7
	v_cmp_gt_i32_e64 s1, s5, v8
	s_and_not1_b32 vcc_lo, exec_lo, s4
	s_cbranch_vccnz .LBB17_42
; %bb.41:
	v_xor_b32_e32 v3, 16, v10
	s_waitcnt vmcnt(0)
	v_xor_b32_e32 v5, 8, v10
	v_xor_b32_e32 v6, 4, v10
	;; [unrolled: 1-line block ×4, first 2 shown]
	v_cmp_gt_i32_e32 vcc_lo, 32, v3
	v_dual_max_f32 v4, v9, v9 :: v_dual_cndmask_b32 v3, v10, v3
	v_cmp_gt_i32_e32 vcc_lo, 32, v5
	v_max_f32_e32 v2, v11, v11
	s_delay_alu instid0(VALU_DEP_3) | instskip(NEXT) | instid1(VALU_DEP_2)
	v_lshlrev_b32_e32 v3, 2, v3
	v_dual_cndmask_b32 v5, v10, v5 :: v_dual_max_f32 v2, 0xff800000, v2
	v_cmp_gt_i32_e32 vcc_lo, 32, v6
	s_delay_alu instid0(VALU_DEP_2) | instskip(NEXT) | instid1(VALU_DEP_3)
	v_lshlrev_b32_e32 v5, 2, v5
	v_cndmask_b32_e64 v2, 0xff800000, v2, s1
	v_cndmask_b32_e32 v6, v10, v6, vcc_lo
	v_cmp_gt_i32_e32 vcc_lo, 32, v12
	s_delay_alu instid0(VALU_DEP_3) | instskip(NEXT) | instid1(VALU_DEP_3)
	v_max_f32_e32 v4, v2, v4
	v_lshlrev_b32_e32 v6, 2, v6
	v_cndmask_b32_e32 v12, v10, v12, vcc_lo
	v_cmp_gt_i32_e32 vcc_lo, 32, v13
	s_delay_alu instid0(VALU_DEP_4) | instskip(NEXT) | instid1(VALU_DEP_3)
	v_cndmask_b32_e64 v2, v2, v4, s0
	v_lshlrev_b32_e32 v12, 2, v12
	v_cndmask_b32_e32 v10, v10, v13, vcc_lo
	ds_bpermute_b32 v4, v3, v2
	v_lshlrev_b32_e32 v10, 2, v10
	s_waitcnt lgkmcnt(0)
	v_max_f32_e32 v4, v4, v4
	s_delay_alu instid0(VALU_DEP_1) | instskip(SKIP_3) | instid1(VALU_DEP_1)
	v_max_f32_e32 v2, v2, v4
	ds_bpermute_b32 v4, v5, v2
	s_waitcnt lgkmcnt(0)
	v_max_f32_e32 v4, v4, v4
	v_max_f32_e32 v2, v2, v4
	ds_bpermute_b32 v4, v6, v2
	s_waitcnt lgkmcnt(0)
	v_max_f32_e32 v4, v4, v4
	s_delay_alu instid0(VALU_DEP_1) | instskip(SKIP_3) | instid1(VALU_DEP_1)
	v_max_f32_e32 v2, v2, v4
	ds_bpermute_b32 v4, v12, v2
	s_waitcnt lgkmcnt(0)
	v_max_f32_e32 v4, v4, v4
	v_max_f32_e32 v2, v2, v4
	ds_bpermute_b32 v4, v10, v2
	s_waitcnt lgkmcnt(0)
	v_max_f32_e32 v4, v4, v4
	s_delay_alu instid0(VALU_DEP_1) | instskip(NEXT) | instid1(VALU_DEP_1)
	v_max_f32_e32 v2, v2, v4
	v_sub_f32_e32 v4, v11, v2
	s_delay_alu instid0(VALU_DEP_1) | instskip(NEXT) | instid1(VALU_DEP_1)
	v_dual_sub_f32 v2, v9, v2 :: v_dual_mul_f32 v9, 0x3fb8aa3b, v4
	v_mul_f32_e32 v11, 0x3fb8aa3b, v2
	v_cmp_ngt_f32_e32 vcc_lo, 0xc2ce8ed0, v4
	s_delay_alu instid0(VALU_DEP_3) | instskip(SKIP_1) | instid1(VALU_DEP_4)
	v_fma_f32 v13, 0x3fb8aa3b, v4, -v9
	v_rndne_f32_e32 v14, v9
	v_fma_f32 v15, 0x3fb8aa3b, v2, -v11
	v_rndne_f32_e32 v16, v11
	s_delay_alu instid0(VALU_DEP_4) | instskip(NEXT) | instid1(VALU_DEP_4)
	v_fmac_f32_e32 v13, 0x32a5705f, v4
	v_sub_f32_e32 v9, v9, v14
	s_delay_alu instid0(VALU_DEP_4) | instskip(NEXT) | instid1(VALU_DEP_4)
	v_fmac_f32_e32 v15, 0x32a5705f, v2
	v_sub_f32_e32 v11, v11, v16
	s_delay_alu instid0(VALU_DEP_3) | instskip(SKIP_1) | instid1(VALU_DEP_3)
	v_add_f32_e32 v9, v9, v13
	v_cvt_i32_f32_e32 v13, v14
	v_add_f32_e32 v11, v11, v15
	v_cvt_i32_f32_e32 v14, v16
	s_delay_alu instid0(VALU_DEP_4) | instskip(NEXT) | instid1(VALU_DEP_2)
	v_exp_f32_e32 v9, v9
	v_exp_f32_e32 v11, v11
	s_waitcnt_depctr 0xfff
	v_ldexp_f32 v9, v9, v13
	v_ldexp_f32 v11, v11, v14
	s_delay_alu instid0(VALU_DEP_2) | instskip(SKIP_1) | instid1(VALU_DEP_3)
	v_cndmask_b32_e32 v9, 0, v9, vcc_lo
	v_cmp_ngt_f32_e32 vcc_lo, 0xc2ce8ed0, v2
	v_cndmask_b32_e32 v11, 0, v11, vcc_lo
	v_cmp_nlt_f32_e32 vcc_lo, 0x42b17218, v4
	s_delay_alu instid0(VALU_DEP_4) | instskip(SKIP_1) | instid1(VALU_DEP_2)
	v_cndmask_b32_e32 v4, 0x7f800000, v9, vcc_lo
	v_cmp_nlt_f32_e32 vcc_lo, 0x42b17218, v2
	v_cndmask_b32_e64 v4, 0, v4, s1
	v_cndmask_b32_e32 v2, 0x7f800000, v11, vcc_lo
	s_delay_alu instid0(VALU_DEP_1) | instskip(NEXT) | instid1(VALU_DEP_1)
	v_add_f32_e32 v9, v2, v4
	v_cndmask_b32_e64 v9, v4, v9, s0
	ds_bpermute_b32 v3, v3, v9
	s_waitcnt lgkmcnt(0)
	v_add_f32_e32 v3, v9, v3
	ds_bpermute_b32 v5, v5, v3
	s_waitcnt lgkmcnt(0)
	v_add_f32_e32 v3, v3, v5
	ds_bpermute_b32 v5, v6, v3
	s_waitcnt lgkmcnt(0)
	v_add_f32_e32 v3, v3, v5
	ds_bpermute_b32 v5, v12, v3
	s_waitcnt lgkmcnt(0)
	v_add_f32_e32 v3, v3, v5
	ds_bpermute_b32 v5, v10, v3
	s_waitcnt lgkmcnt(0)
	v_add_f32_e32 v3, v3, v5
	s_delay_alu instid0(VALU_DEP_1) | instskip(SKIP_1) | instid1(VALU_DEP_2)
	v_div_scale_f32 v5, null, v3, v3, 1.0
	v_div_scale_f32 v10, vcc_lo, 1.0, v3, 1.0
	v_rcp_f32_e32 v6, v5
	s_waitcnt_depctr 0xfff
	v_fma_f32 v9, -v5, v6, 1.0
	s_delay_alu instid0(VALU_DEP_1) | instskip(NEXT) | instid1(VALU_DEP_1)
	v_fmac_f32_e32 v6, v9, v6
	v_mul_f32_e32 v9, v10, v6
	s_delay_alu instid0(VALU_DEP_1) | instskip(NEXT) | instid1(VALU_DEP_1)
	v_fma_f32 v11, -v5, v9, v10
	v_fmac_f32_e32 v9, v11, v6
	v_cndmask_b32_e64 v2, 0, v2, s0
	s_delay_alu instid0(VALU_DEP_2) | instskip(NEXT) | instid1(VALU_DEP_1)
	v_fma_f32 v5, -v5, v9, v10
	v_div_fmas_f32 v5, v5, v6, v9
	s_delay_alu instid0(VALU_DEP_1) | instskip(NEXT) | instid1(VALU_DEP_1)
	v_div_fixup_f32 v3, v5, v3, 1.0
	v_mul_f32_e32 v5, v4, v3
	v_mul_f32_e32 v3, v2, v3
	s_delay_alu instid0(VALU_DEP_2) | instskip(NEXT) | instid1(VALU_DEP_2)
	v_cndmask_b32_e64 v11, v4, v5, s1
	v_cndmask_b32_e64 v9, v2, v3, s0
.LBB17_42:
	v_mul_lo_u32 v1, v1, s5
	s_mov_b32 s0, exec_lo
	s_delay_alu instid0(VALU_DEP_1) | instskip(NEXT) | instid1(VALU_DEP_1)
	v_ashrrev_i32_e32 v2, 31, v1
	v_lshlrev_b64 v[1:2], 2, v[1:2]
	s_delay_alu instid0(VALU_DEP_1) | instskip(NEXT) | instid1(VALU_DEP_2)
	v_add_co_u32 v1, vcc_lo, s10, v1
	v_add_co_ci_u32_e32 v2, vcc_lo, s11, v2, vcc_lo
	v_cmpx_gt_i32_e64 s5, v8
	s_cbranch_execz .LBB17_44
; %bb.43:
	s_delay_alu instid0(VALU_DEP_3) | instskip(NEXT) | instid1(VALU_DEP_3)
	v_add_co_u32 v3, vcc_lo, v1, v0
	v_add_co_ci_u32_e32 v4, vcc_lo, 0, v2, vcc_lo
	s_waitcnt vmcnt(0)
	v_mul_f32_e32 v5, s7, v11
	global_store_b32 v[3:4], v5, off
.LBB17_44:
	s_or_b32 exec_lo, exec_lo, s0
	v_cmp_gt_i32_e32 vcc_lo, s5, v7
	s_and_b32 exec_lo, exec_lo, vcc_lo
	s_cbranch_execz .LBB17_46
; %bb.45:
	v_add_co_u32 v0, vcc_lo, v1, v0
	v_add_co_ci_u32_e32 v1, vcc_lo, 0, v2, vcc_lo
	v_mul_f32_e32 v2, s7, v9
	global_store_b32 v[0:1], v2, off offset:128
.LBB17_46:
	s_nop 0
	s_sendmsg sendmsg(MSG_DEALLOC_VGPRS)
	s_endpgm
	.section	.rodata,"a",@progbits
	.p2align	6, 0x0
	.amdhsa_kernel _Z13topk_moe_cudaILi64ELb0EEvPKfPfPiS2_iiff15topk_moe_config
		.amdhsa_group_segment_fixed_size 0
		.amdhsa_private_segment_fixed_size 0
		.amdhsa_kernarg_size 312
		.amdhsa_user_sgpr_count 15
		.amdhsa_user_sgpr_dispatch_ptr 0
		.amdhsa_user_sgpr_queue_ptr 0
		.amdhsa_user_sgpr_kernarg_segment_ptr 1
		.amdhsa_user_sgpr_dispatch_id 0
		.amdhsa_user_sgpr_private_segment_size 0
		.amdhsa_wavefront_size32 1
		.amdhsa_uses_dynamic_stack 0
		.amdhsa_enable_private_segment 0
		.amdhsa_system_sgpr_workgroup_id_x 1
		.amdhsa_system_sgpr_workgroup_id_y 0
		.amdhsa_system_sgpr_workgroup_id_z 0
		.amdhsa_system_sgpr_workgroup_info 0
		.amdhsa_system_vgpr_workitem_id 1
		.amdhsa_next_free_vgpr 21
		.amdhsa_next_free_sgpr 16
		.amdhsa_reserve_vcc 1
		.amdhsa_float_round_mode_32 0
		.amdhsa_float_round_mode_16_64 0
		.amdhsa_float_denorm_mode_32 3
		.amdhsa_float_denorm_mode_16_64 3
		.amdhsa_dx10_clamp 1
		.amdhsa_ieee_mode 1
		.amdhsa_fp16_overflow 0
		.amdhsa_workgroup_processor_mode 1
		.amdhsa_memory_ordered 1
		.amdhsa_forward_progress 0
		.amdhsa_shared_vgpr_count 0
		.amdhsa_exception_fp_ieee_invalid_op 0
		.amdhsa_exception_fp_denorm_src 0
		.amdhsa_exception_fp_ieee_div_zero 0
		.amdhsa_exception_fp_ieee_overflow 0
		.amdhsa_exception_fp_ieee_underflow 0
		.amdhsa_exception_fp_ieee_inexact 0
		.amdhsa_exception_int_div_zero 0
	.end_amdhsa_kernel
	.section	.text._Z13topk_moe_cudaILi64ELb0EEvPKfPfPiS2_iiff15topk_moe_config,"axG",@progbits,_Z13topk_moe_cudaILi64ELb0EEvPKfPfPiS2_iiff15topk_moe_config,comdat
.Lfunc_end17:
	.size	_Z13topk_moe_cudaILi64ELb0EEvPKfPfPiS2_iiff15topk_moe_config, .Lfunc_end17-_Z13topk_moe_cudaILi64ELb0EEvPKfPfPiS2_iiff15topk_moe_config
                                        ; -- End function
	.section	.AMDGPU.csdata,"",@progbits
; Kernel info:
; codeLenInByte = 3516
; NumSgprs: 18
; NumVgprs: 21
; ScratchSize: 0
; MemoryBound: 0
; FloatMode: 240
; IeeeMode: 1
; LDSByteSize: 0 bytes/workgroup (compile time only)
; SGPRBlocks: 2
; VGPRBlocks: 2
; NumSGPRsForWavesPerEU: 18
; NumVGPRsForWavesPerEU: 21
; Occupancy: 16
; WaveLimiterHint : 1
; COMPUTE_PGM_RSRC2:SCRATCH_EN: 0
; COMPUTE_PGM_RSRC2:USER_SGPR: 15
; COMPUTE_PGM_RSRC2:TRAP_HANDLER: 0
; COMPUTE_PGM_RSRC2:TGID_X_EN: 1
; COMPUTE_PGM_RSRC2:TGID_Y_EN: 0
; COMPUTE_PGM_RSRC2:TGID_Z_EN: 0
; COMPUTE_PGM_RSRC2:TIDIG_COMP_CNT: 1
	.section	.text._Z13topk_moe_cudaILi128ELb0EEvPKfPfPiS2_iiff15topk_moe_config,"axG",@progbits,_Z13topk_moe_cudaILi128ELb0EEvPKfPfPiS2_iiff15topk_moe_config,comdat
	.protected	_Z13topk_moe_cudaILi128ELb0EEvPKfPfPiS2_iiff15topk_moe_config ; -- Begin function _Z13topk_moe_cudaILi128ELb0EEvPKfPfPiS2_iiff15topk_moe_config
	.globl	_Z13topk_moe_cudaILi128ELb0EEvPKfPfPiS2_iiff15topk_moe_config
	.p2align	8
	.type	_Z13topk_moe_cudaILi128ELb0EEvPKfPfPiS2_iiff15topk_moe_config,@function
_Z13topk_moe_cudaILi128ELb0EEvPKfPfPiS2_iiff15topk_moe_config: ; @_Z13topk_moe_cudaILi128ELb0EEvPKfPfPiS2_iiff15topk_moe_config
; %bb.0:
	s_clause 0x1
	s_load_b32 s2, s[0:1], 0x44
	s_load_b128 s[4:7], s[0:1], 0x20
	v_bfe_u32 v1, v0, 10, 10
	s_waitcnt lgkmcnt(0)
	s_lshr_b32 s2, s2, 16
	s_delay_alu instid0(VALU_DEP_1) | instid1(SALU_CYCLE_1)
	v_mad_u64_u32 v[8:9], null, s15, s2, v[1:2]
	s_mov_b32 s2, exec_lo
	s_delay_alu instid0(VALU_DEP_1)
	v_cmpx_gt_i32_e64 s4, v8
	s_cbranch_execz .LBB18_47
; %bb.1:
	s_clause 0x1
	s_load_b128 s[8:11], s[0:1], 0x0
	s_load_b64 s[12:13], s[0:1], 0x10
	v_lshlrev_b32_e32 v1, 7, v8
	v_and_b32_e32 v12, 0x3ff, v0
	s_delay_alu instid0(VALU_DEP_2) | instskip(NEXT) | instid1(VALU_DEP_2)
	v_ashrrev_i32_e32 v2, 31, v1
	v_lshlrev_b32_e32 v11, 2, v12
	s_delay_alu instid0(VALU_DEP_2) | instskip(SKIP_2) | instid1(VALU_DEP_2)
	v_lshlrev_b64 v[9:10], 2, v[1:2]
	v_mov_b32_e32 v2, 0
	s_waitcnt lgkmcnt(0)
	v_add_co_u32 v0, vcc_lo, s8, v9
	s_delay_alu instid0(VALU_DEP_3) | instskip(NEXT) | instid1(VALU_DEP_2)
	v_add_co_ci_u32_e32 v1, vcc_lo, s9, v10, vcc_lo
	v_add_co_u32 v3, vcc_lo, v0, v11
	s_delay_alu instid0(VALU_DEP_2)
	v_add_co_ci_u32_e32 v4, vcc_lo, 0, v1, vcc_lo
	global_load_u16 v13, v2, s[0:1] offset:48
	s_clause 0x3
	global_load_b32 v0, v[3:4], off
	global_load_b32 v1, v[3:4], off offset:128
	global_load_b32 v2, v[3:4], off offset:256
	;; [unrolled: 1-line block ×3, first 2 shown]
	s_load_b32 s0, s[0:1], 0x30
	s_waitcnt lgkmcnt(0)
	s_bitcmp1_b32 s0, 16
	s_cselect_b32 s4, -1, 0
	s_delay_alu instid0(SALU_CYCLE_1)
	s_and_b32 vcc_lo, exec_lo, s4
	s_cbranch_vccnz .LBB18_4
; %bb.2:
	s_waitcnt vmcnt(4)
	v_and_b32_e32 v4, 1, v13
	s_delay_alu instid0(VALU_DEP_1)
	v_cmp_eq_u32_e32 vcc_lo, 0, v4
	s_cbranch_vccz .LBB18_5
; %bb.3:
	v_mbcnt_lo_u32_b32 v4, -1, 0
	s_waitcnt vmcnt(2)
	v_max3_f32 v6, v0, 0xff800000, v1
	s_delay_alu instid0(VALU_DEP_2) | instskip(SKIP_2) | instid1(VALU_DEP_3)
	v_xor_b32_e32 v5, 16, v4
	v_xor_b32_e32 v14, 8, v4
	s_waitcnt vmcnt(0)
	v_max3_f32 v6, v6, v2, v3
	v_xor_b32_e32 v15, 4, v4
	v_xor_b32_e32 v16, 2, v4
	v_cmp_gt_i32_e32 vcc_lo, 32, v5
	v_xor_b32_e32 v17, 1, v4
	v_cndmask_b32_e32 v5, v4, v5, vcc_lo
	v_cmp_gt_i32_e32 vcc_lo, 32, v14
	v_cndmask_b32_e32 v14, v4, v14, vcc_lo
	v_cmp_gt_i32_e32 vcc_lo, 32, v15
	s_delay_alu instid0(VALU_DEP_2)
	v_lshlrev_b32_e32 v14, 2, v14
	v_lshlrev_b32_e32 v5, 2, v5
	v_cndmask_b32_e32 v15, v4, v15, vcc_lo
	v_cmp_gt_i32_e32 vcc_lo, 32, v16
	ds_bpermute_b32 v7, v5, v6
	v_cndmask_b32_e32 v16, v4, v16, vcc_lo
	v_cmp_gt_i32_e32 vcc_lo, 32, v17
	s_delay_alu instid0(VALU_DEP_2) | instskip(SKIP_2) | instid1(VALU_DEP_1)
	v_lshlrev_b32_e32 v16, 2, v16
	v_dual_cndmask_b32 v4, v4, v17 :: v_dual_lshlrev_b32 v15, 2, v15
	s_waitcnt lgkmcnt(0)
	v_dual_max_f32 v7, v7, v7 :: v_dual_lshlrev_b32 v4, 2, v4
	s_delay_alu instid0(VALU_DEP_1) | instskip(SKIP_3) | instid1(VALU_DEP_1)
	v_max_f32_e32 v6, v6, v7
	ds_bpermute_b32 v7, v14, v6
	s_waitcnt lgkmcnt(0)
	v_max_f32_e32 v7, v7, v7
	v_max_f32_e32 v6, v6, v7
	ds_bpermute_b32 v7, v15, v6
	s_waitcnt lgkmcnt(0)
	v_max_f32_e32 v7, v7, v7
	s_delay_alu instid0(VALU_DEP_1) | instskip(SKIP_3) | instid1(VALU_DEP_1)
	v_max_f32_e32 v6, v6, v7
	ds_bpermute_b32 v7, v16, v6
	s_waitcnt lgkmcnt(0)
	v_max_f32_e32 v7, v7, v7
	v_max_f32_e32 v6, v6, v7
	ds_bpermute_b32 v7, v4, v6
	s_waitcnt lgkmcnt(0)
	v_max_f32_e32 v7, v7, v7
	s_delay_alu instid0(VALU_DEP_1) | instskip(NEXT) | instid1(VALU_DEP_1)
	v_max_f32_e32 v6, v6, v7
	v_sub_f32_e32 v18, v2, v6
	s_delay_alu instid0(VALU_DEP_1) | instskip(NEXT) | instid1(VALU_DEP_1)
	v_mul_f32_e32 v21, 0x3fb8aa3b, v18
	v_fma_f32 v27, 0x3fb8aa3b, v18, -v21
	v_rndne_f32_e32 v28, v21
	s_delay_alu instid0(VALU_DEP_2) | instskip(SKIP_2) | instid1(VALU_DEP_4)
	v_fmac_f32_e32 v27, 0x32a5705f, v18
	v_sub_f32_e32 v7, v0, v6
	v_sub_f32_e32 v17, v1, v6
	v_dual_sub_f32 v6, v3, v6 :: v_dual_sub_f32 v21, v21, v28
	s_delay_alu instid0(VALU_DEP_2) | instskip(NEXT) | instid1(VALU_DEP_2)
	v_mul_f32_e32 v20, 0x3fb8aa3b, v17
	v_dual_mul_f32 v22, 0x3fb8aa3b, v6 :: v_dual_add_f32 v21, v21, v27
	s_delay_alu instid0(VALU_DEP_2) | instskip(NEXT) | instid1(VALU_DEP_2)
	v_fma_f32 v25, 0x3fb8aa3b, v17, -v20
	v_fma_f32 v29, 0x3fb8aa3b, v6, -v22
	v_rndne_f32_e32 v30, v22
	v_rndne_f32_e32 v26, v20
	v_exp_f32_e32 v21, v21
	v_fmac_f32_e32 v25, 0x32a5705f, v17
	v_fmac_f32_e32 v29, 0x32a5705f, v6
	v_sub_f32_e32 v22, v22, v30
	v_sub_f32_e32 v20, v20, v26
	s_delay_alu instid0(VALU_DEP_2) | instskip(SKIP_1) | instid1(VALU_DEP_3)
	v_dual_add_f32 v22, v22, v29 :: v_dual_mul_f32 v19, 0x3fb8aa3b, v7
	v_cmp_ngt_f32_e32 vcc_lo, 0xc2ce8ed0, v7
	v_add_f32_e32 v20, v20, v25
	v_cvt_i32_f32_e32 v25, v28
	s_delay_alu instid0(VALU_DEP_4) | instskip(SKIP_4) | instid1(VALU_DEP_3)
	v_exp_f32_e32 v22, v22
	v_fma_f32 v23, 0x3fb8aa3b, v7, -v19
	v_rndne_f32_e32 v24, v19
	v_exp_f32_e32 v20, v20
	v_ldexp_f32 v21, v21, v25
	v_fmac_f32_e32 v23, 0x32a5705f, v7
	s_delay_alu instid0(VALU_DEP_3) | instskip(NEXT) | instid1(VALU_DEP_1)
	v_sub_f32_e32 v19, v19, v24
	v_add_f32_e32 v19, v19, v23
	v_cvt_i32_f32_e32 v23, v24
	v_cvt_i32_f32_e32 v24, v26
	;; [unrolled: 1-line block ×3, first 2 shown]
	s_delay_alu instid0(VALU_DEP_4)
	v_exp_f32_e32 v19, v19
	s_delay_alu instid0(TRANS32_DEP_2) | instid1(VALU_DEP_2)
	v_ldexp_f32 v20, v20, v24
	s_delay_alu instid0(VALU_DEP_2) | instskip(SKIP_2) | instid1(VALU_DEP_1)
	v_ldexp_f32 v22, v22, v26
	s_waitcnt_depctr 0xfff
	v_ldexp_f32 v19, v19, v23
	v_cndmask_b32_e32 v19, 0, v19, vcc_lo
	v_cmp_ngt_f32_e32 vcc_lo, 0xc2ce8ed0, v17
	v_cndmask_b32_e32 v20, 0, v20, vcc_lo
	v_cmp_ngt_f32_e32 vcc_lo, 0xc2ce8ed0, v18
	v_cndmask_b32_e32 v21, 0, v21, vcc_lo
	v_cmp_nlt_f32_e32 vcc_lo, 0x42b17218, v7
	v_cndmask_b32_e32 v7, 0x7f800000, v19, vcc_lo
	v_cmp_nlt_f32_e32 vcc_lo, 0x42b17218, v17
	v_cndmask_b32_e32 v17, 0x7f800000, v20, vcc_lo
	v_cmp_ngt_f32_e32 vcc_lo, 0xc2ce8ed0, v6
	s_delay_alu instid0(VALU_DEP_2) | instskip(SKIP_3) | instid1(VALU_DEP_2)
	v_dual_add_f32 v20, v7, v17 :: v_dual_cndmask_b32 v19, 0, v22
	v_cmp_nlt_f32_e32 vcc_lo, 0x42b17218, v18
	v_cndmask_b32_e32 v18, 0x7f800000, v21, vcc_lo
	v_cmp_nlt_f32_e32 vcc_lo, 0x42b17218, v6
	v_dual_add_f32 v6, v18, v20 :: v_dual_cndmask_b32 v19, 0x7f800000, v19
	s_delay_alu instid0(VALU_DEP_1)
	v_add_f32_e32 v6, v19, v6
	ds_bpermute_b32 v5, v5, v6
	s_waitcnt lgkmcnt(0)
	v_add_f32_e32 v5, v6, v5
	ds_bpermute_b32 v6, v14, v5
	s_waitcnt lgkmcnt(0)
	;; [unrolled: 3-line block ×5, first 2 shown]
	v_add_f32_e32 v4, v5, v4
	s_delay_alu instid0(VALU_DEP_1) | instskip(SKIP_1) | instid1(VALU_DEP_2)
	v_div_scale_f32 v5, null, v4, v4, 1.0
	v_div_scale_f32 v15, vcc_lo, 1.0, v4, 1.0
	v_rcp_f32_e32 v6, v5
	s_waitcnt_depctr 0xfff
	v_fma_f32 v14, -v5, v6, 1.0
	s_delay_alu instid0(VALU_DEP_1) | instskip(NEXT) | instid1(VALU_DEP_1)
	v_fmac_f32_e32 v6, v14, v6
	v_mul_f32_e32 v14, v15, v6
	s_delay_alu instid0(VALU_DEP_1) | instskip(NEXT) | instid1(VALU_DEP_1)
	v_fma_f32 v16, -v5, v14, v15
	v_fmac_f32_e32 v14, v16, v6
	s_delay_alu instid0(VALU_DEP_1) | instskip(NEXT) | instid1(VALU_DEP_1)
	v_fma_f32 v5, -v5, v14, v15
	v_div_fmas_f32 v5, v5, v6, v14
	s_delay_alu instid0(VALU_DEP_1) | instskip(NEXT) | instid1(VALU_DEP_1)
	v_div_fixup_f32 v14, v5, v4, 1.0
	v_mul_f32_e32 v4, v7, v14
	v_mul_f32_e32 v5, v17, v14
	;; [unrolled: 1-line block ×4, first 2 shown]
	s_cbranch_execz .LBB18_6
	s_branch .LBB18_7
.LBB18_4:
	s_waitcnt vmcnt(3)
	v_mov_b32_e32 v4, v0
	s_branch .LBB18_8
.LBB18_5:
                                        ; implicit-def: $vgpr4
.LBB18_6:
	s_waitcnt vmcnt(2)
	v_dual_mul_f32 v4, 0xbfb8aa3b, v0 :: v_dual_mul_f32 v5, 0xbfb8aa3b, v1
	s_waitcnt vmcnt(0)
	v_dual_mul_f32 v6, 0xbfb8aa3b, v2 :: v_dual_mul_f32 v7, 0xbfb8aa3b, v3
	v_cmp_nlt_f32_e32 vcc_lo, 0x42ce8ed0, v0
	s_delay_alu instid0(VALU_DEP_3) | instskip(SKIP_4) | instid1(VALU_DEP_4)
	v_rndne_f32_e32 v14, v4
	v_fma_f32 v15, 0xbfb8aa3b, v0, -v4
	v_rndne_f32_e32 v16, v5
	v_fma_f32 v17, 0xbfb8aa3b, v1, -v5
	v_rndne_f32_e32 v18, v6
	v_dual_sub_f32 v4, v4, v14 :: v_dual_fmac_f32 v15, 0xb2a5705f, v0
	s_delay_alu instid0(VALU_DEP_4)
	v_sub_f32_e32 v5, v5, v16
	v_cvt_i32_f32_e32 v14, v14
	v_fma_f32 v19, 0xbfb8aa3b, v2, -v6
	v_dual_fmac_f32 v17, 0xb2a5705f, v1 :: v_dual_sub_f32 v6, v6, v18
	v_add_f32_e32 v4, v4, v15
	v_rndne_f32_e32 v20, v7
	v_fma_f32 v21, 0xbfb8aa3b, v3, -v7
	v_cvt_i32_f32_e32 v15, v18
	s_delay_alu instid0(VALU_DEP_4)
	v_exp_f32_e32 v4, v4
	s_waitcnt_depctr 0xfff
	v_ldexp_f32 v4, v4, v14
	v_fmac_f32_e32 v19, 0xb2a5705f, v2
	v_cvt_i32_f32_e32 v14, v16
	v_cvt_i32_f32_e32 v16, v20
	s_delay_alu instid0(VALU_DEP_4) | instskip(SKIP_3) | instid1(VALU_DEP_4)
	v_cndmask_b32_e32 v4, 0, v4, vcc_lo
	v_cmp_ngt_f32_e32 vcc_lo, 0xc2b17218, v0
	v_add_f32_e32 v5, v5, v17
	v_dual_sub_f32 v7, v7, v20 :: v_dual_add_f32 v6, v6, v19
	v_cndmask_b32_e32 v0, 0x7f800000, v4, vcc_lo
	s_delay_alu instid0(VALU_DEP_3) | instskip(SKIP_1) | instid1(VALU_DEP_3)
	v_exp_f32_e32 v5, v5
	v_cmp_nlt_f32_e32 vcc_lo, 0x42ce8ed0, v1
	v_exp_f32_e32 v6, v6
	s_delay_alu instid0(VALU_DEP_2) | instskip(SKIP_4) | instid1(VALU_DEP_3)
	v_add_f32_e32 v0, 1.0, v0
	s_waitcnt_depctr 0xfff
	v_ldexp_f32 v5, v5, v14
	v_fmac_f32_e32 v21, 0xb2a5705f, v3
	v_ldexp_f32 v6, v6, v15
	v_cndmask_b32_e32 v4, 0, v5, vcc_lo
	s_delay_alu instid0(VALU_DEP_3) | instskip(SKIP_1) | instid1(VALU_DEP_2)
	v_add_f32_e32 v7, v7, v21
	v_cmp_nlt_f32_e32 vcc_lo, 0x42ce8ed0, v2
	v_exp_f32_e32 v7, v7
	v_cndmask_b32_e32 v5, 0, v6, vcc_lo
	v_cmp_ngt_f32_e32 vcc_lo, 0xc2b17218, v1
	v_cndmask_b32_e32 v1, 0x7f800000, v4, vcc_lo
	v_cmp_ngt_f32_e32 vcc_lo, 0xc2b17218, v2
	v_div_scale_f32 v4, null, v0, v0, 1.0
	s_waitcnt_depctr 0xfff
	v_ldexp_f32 v7, v7, v16
	v_cndmask_b32_e32 v2, 0x7f800000, v5, vcc_lo
	v_cmp_nlt_f32_e32 vcc_lo, 0x42ce8ed0, v3
	v_rcp_f32_e32 v6, v4
	s_delay_alu instid0(VALU_DEP_3) | instskip(SKIP_1) | instid1(VALU_DEP_2)
	v_cndmask_b32_e32 v5, 0, v7, vcc_lo
	v_cmp_ngt_f32_e32 vcc_lo, 0xc2b17218, v3
	v_cndmask_b32_e32 v3, 0x7f800000, v5, vcc_lo
	s_waitcnt_depctr 0xfff
	v_fma_f32 v16, -v4, v6, 1.0
	v_dual_add_f32 v3, 1.0, v3 :: v_dual_add_f32 v2, 1.0, v2
	s_delay_alu instid0(VALU_DEP_2) | instskip(SKIP_1) | instid1(VALU_DEP_3)
	v_dual_add_f32 v1, 1.0, v1 :: v_dual_fmac_f32 v6, v16, v6
	v_div_scale_f32 v16, vcc_lo, 1.0, v0, 1.0
	v_div_scale_f32 v14, null, v2, v2, 1.0
	s_delay_alu instid0(VALU_DEP_3) | instskip(SKIP_1) | instid1(VALU_DEP_3)
	v_div_scale_f32 v7, null, v1, v1, 1.0
	v_div_scale_f32 v17, null, v3, v3, 1.0
	v_rcp_f32_e32 v15, v14
	s_delay_alu instid0(VALU_DEP_2) | instskip(SKIP_1) | instid1(VALU_DEP_2)
	v_rcp_f32_e32 v5, v7
	v_div_scale_f32 v21, s0, 1.0, v1, 1.0
	v_rcp_f32_e32 v19, v17
	s_delay_alu instid0(TRANS32_DEP_3) | instskip(SKIP_3) | instid1(VALU_DEP_2)
	v_fma_f32 v20, -v14, v15, 1.0
	s_waitcnt_depctr 0xfff
	v_fma_f32 v18, -v7, v5, 1.0
	v_fma_f32 v22, -v17, v19, 1.0
	v_dual_fmac_f32 v5, v18, v5 :: v_dual_mul_f32 v18, v16, v6
	v_fmac_f32_e32 v15, v20, v15
	v_div_scale_f32 v20, s1, 1.0, v2, 1.0
	s_delay_alu instid0(VALU_DEP_3) | instskip(NEXT) | instid1(VALU_DEP_4)
	v_mul_f32_e32 v24, v21, v5
	v_fma_f32 v23, -v4, v18, v16
	v_fmac_f32_e32 v19, v22, v19
	v_div_scale_f32 v22, s2, 1.0, v3, 1.0
	s_delay_alu instid0(VALU_DEP_3) | instskip(SKIP_2) | instid1(VALU_DEP_4)
	v_fmac_f32_e32 v18, v23, v6
	v_fma_f32 v23, -v7, v24, v21
	v_mul_f32_e32 v25, v20, v15
	v_mul_f32_e32 v27, v22, v19
	s_delay_alu instid0(VALU_DEP_4) | instskip(NEXT) | instid1(VALU_DEP_4)
	v_fma_f32 v4, -v4, v18, v16
	v_fmac_f32_e32 v24, v23, v5
	s_delay_alu instid0(VALU_DEP_4) | instskip(NEXT) | instid1(VALU_DEP_4)
	v_fma_f32 v26, -v14, v25, v20
	v_fma_f32 v16, -v17, v27, v22
	s_delay_alu instid0(VALU_DEP_4) | instskip(NEXT) | instid1(VALU_DEP_4)
	v_div_fmas_f32 v4, v4, v6, v18
	v_fma_f32 v6, -v7, v24, v21
	s_delay_alu instid0(VALU_DEP_4) | instskip(NEXT) | instid1(VALU_DEP_4)
	v_fmac_f32_e32 v25, v26, v15
	v_fmac_f32_e32 v27, v16, v19
	s_mov_b32 vcc_lo, s0
	v_div_fixup_f32 v4, v4, v0, 1.0
	v_div_fmas_f32 v5, v6, v5, v24
	v_fma_f32 v7, -v14, v25, v20
	v_fma_f32 v6, -v17, v27, v22
	s_mov_b32 vcc_lo, s1
	s_delay_alu instid0(VALU_DEP_3) | instskip(NEXT) | instid1(VALU_DEP_3)
	v_div_fixup_f32 v5, v5, v1, 1.0
	v_div_fmas_f32 v7, v7, v15, v25
	s_mov_b32 vcc_lo, s2
	v_div_fmas_f32 v14, v6, v19, v27
	s_delay_alu instid0(VALU_DEP_2) | instskip(NEXT) | instid1(VALU_DEP_2)
	v_div_fixup_f32 v6, v7, v2, 1.0
	v_div_fixup_f32 v7, v14, v3, 1.0
.LBB18_7:
	s_waitcnt vmcnt(0)
	v_dual_mov_b32 v0, v4 :: v_dual_mov_b32 v1, v5
	s_delay_alu instid0(VALU_DEP_2)
	v_dual_mov_b32 v2, v6 :: v_dual_mov_b32 v3, v7
.LBB18_8:
	v_lshrrev_b16 v5, 8, v13
	s_cmp_gt_i32 s5, 0
	s_delay_alu instid0(VALU_DEP_1)
	v_readfirstlane_b32 s1, v5
	s_cbranch_scc1 .LBB18_10
; %bb.9:
	s_delay_alu instid0(VALU_DEP_1)
	s_bitcmp1_b32 s1, 0
	s_mov_b32 s0, 0
	s_mov_b32 s2, 0
	s_cselect_b32 s3, -1, 0
	s_branch .LBB18_11
.LBB18_10:
	s_mov_b32 s0, -1
                                        ; implicit-def: $sgpr2
                                        ; implicit-def: $sgpr3
.LBB18_11:
	v_dual_mov_b32 v14, s2 :: v_dual_add_nc_u32 v7, 32, v12
	v_dual_mov_b32 v13, s2 :: v_dual_add_nc_u32 v6, 64, v12
	;; [unrolled: 1-line block ×3, first 2 shown]
	v_mbcnt_lo_u32_b32 v15, -1, 0
	v_dual_mov_b32 v17, s2 :: v_dual_mov_b32 v18, s2
	s_and_not1_b32 vcc_lo, exec_lo, s0
	s_cbranch_vccnz .LBB18_38
; %bb.12:
	s_mov_b32 s0, 0xff7fffff
	s_waitcnt vmcnt(0)
	v_dual_mov_b32 v19, v3 :: v_dual_mov_b32 v18, v2
	v_dual_mov_b32 v17, v1 :: v_dual_mov_b32 v16, v0
	v_cmp_u_f32_e32 vcc_lo, v4, v4
	v_mov_b32_e32 v13, s0
	v_xor_b32_e32 v14, 8, v15
	v_xor_b32_e32 v16, 2, v15
	s_bitcmp1_b32 s1, 0
	s_mov_b32 s8, 0
	v_cndmask_b32_e32 v4, v0, v13, vcc_lo
	v_cndmask_b32_e32 v13, v1, v17, vcc_lo
	v_add_co_u32 v0, s0, s12, v9
	s_delay_alu instid0(VALU_DEP_1)
	v_add_co_ci_u32_e64 v1, s0, s13, v10, s0
	v_xor_b32_e32 v9, 16, v15
	v_dual_cndmask_b32 v10, v3, v19 :: v_dual_cndmask_b32 v3, v2, v18
	v_cmp_o_f32_e32 vcc_lo, v13, v13
	v_xor_b32_e32 v17, 1, v15
	v_mov_b32_e32 v18, 0
	s_cselect_b32 s3, -1, 0
	v_cndmask_b32_e32 v2, 0xff7fffff, v13, vcc_lo
	v_cmp_gt_i32_e32 vcc_lo, 32, v9
	v_cndmask_b32_e32 v13, v15, v9, vcc_lo
	v_cmp_o_f32_e32 vcc_lo, v3, v3
	v_cndmask_b32_e32 v3, 0xff7fffff, v3, vcc_lo
	v_cmp_o_f32_e32 vcc_lo, v10, v10
	s_delay_alu instid0(VALU_DEP_4) | instskip(SKIP_3) | instid1(VALU_DEP_3)
	v_dual_cndmask_b32 v9, 0xff7fffff, v10 :: v_dual_lshlrev_b32 v10, 2, v13
	v_xor_b32_e32 v13, 4, v15
	v_cmp_gt_i32_e32 vcc_lo, 32, v14
	v_cndmask_b32_e32 v14, v15, v14, vcc_lo
	v_cmp_gt_i32_e32 vcc_lo, 32, v13
	s_delay_alu instid0(VALU_DEP_2)
	v_lshlrev_b32_e32 v19, 2, v14
	v_cndmask_b32_e32 v13, v15, v13, vcc_lo
	v_cmp_gt_i32_e32 vcc_lo, 32, v16
	v_mov_b32_e32 v14, 0
	v_cndmask_b32_e32 v16, v15, v16, vcc_lo
	v_cmp_gt_i32_e32 vcc_lo, 32, v17
	v_cndmask_b32_e32 v17, v15, v17, vcc_lo
	s_delay_alu instid0(VALU_DEP_1) | instskip(NEXT) | instid1(VALU_DEP_4)
	v_dual_mov_b32 v17, 0 :: v_dual_lshlrev_b32 v22, 2, v17
	v_dual_mov_b32 v16, 0 :: v_dual_lshlrev_b32 v21, 2, v16
	;; [unrolled: 1-line block ×3, first 2 shown]
	s_branch .LBB18_14
.LBB18_13:                              ;   in Loop: Header=BB18_14 Depth=1
	s_or_b32 exec_lo, exec_lo, s0
	s_lshr_b32 s2, s8, 5
	s_and_b32 s9, s8, 31
	s_cmp_eq_u32 s2, 3
	s_cselect_b32 vcc_lo, -1, 0
	s_cmp_eq_u32 s2, 2
	s_cselect_b32 s0, -1, 0
	s_cmp_eq_u32 s2, 1
	s_waitcnt lgkmcnt(0)
	v_cndmask_b32_e64 v26, v14, v23, s0
	s_cselect_b32 s1, -1, 0
	s_cmp_eq_u32 s2, 0
	v_cndmask_b32_e64 v25, v16, v23, s1
	s_cselect_b32 s2, -1, 0
	s_add_i32 s8, s8, 1
	v_cndmask_b32_e64 v24, v17, v23, s2
	v_cmp_eq_u32_e64 s2, s9, v12
	v_cndmask_b32_e32 v23, v13, v23, vcc_lo
	v_add_co_u32 v0, vcc_lo, v0, 4
	v_add_co_ci_u32_e32 v1, vcc_lo, 0, v1, vcc_lo
	s_delay_alu instid0(VALU_DEP_4)
	v_cndmask_b32_e64 v17, v17, v24, s2
	v_cndmask_b32_e64 v16, v16, v25, s2
	;; [unrolled: 1-line block ×4, first 2 shown]
	s_cmp_eq_u32 s5, s8
	s_cbranch_scc1 .LBB18_38
.LBB18_14:                              ; =>This Inner Loop Header: Depth=1
	v_cmp_gt_f32_e32 vcc_lo, v2, v4
	s_mov_b32 s2, exec_lo
	v_cndmask_b32_e32 v23, v4, v2, vcc_lo
	s_delay_alu instid0(VALU_DEP_1) | instskip(NEXT) | instid1(VALU_DEP_1)
	v_cmp_gt_f32_e64 s0, v3, v23
	v_cndmask_b32_e64 v23, v23, v3, s0
	v_cndmask_b32_e32 v24, v12, v7, vcc_lo
	s_delay_alu instid0(VALU_DEP_2) | instskip(SKIP_1) | instid1(VALU_DEP_3)
	v_cmp_gt_f32_e32 vcc_lo, v9, v23
	v_cndmask_b32_e32 v23, v23, v9, vcc_lo
	v_cndmask_b32_e64 v24, v24, v6, s0
	ds_bpermute_b32 v25, v10, v23
	v_cndmask_b32_e32 v24, v24, v5, vcc_lo
	ds_bpermute_b32 v26, v10, v24
	s_waitcnt lgkmcnt(1)
	v_cmp_lt_f32_e64 s1, v23, v25
	v_cmpx_nlt_f32_e32 v23, v25
	s_cbranch_execz .LBB18_16
; %bb.15:                               ;   in Loop: Header=BB18_14 Depth=1
	v_cmp_eq_f32_e32 vcc_lo, v23, v25
	s_waitcnt lgkmcnt(0)
	v_cmp_lt_i32_e64 s0, v26, v24
	s_and_not1_b32 s1, s1, exec_lo
	s_delay_alu instid0(VALU_DEP_1) | instskip(NEXT) | instid1(SALU_CYCLE_1)
	s_and_b32 s0, vcc_lo, s0
	s_and_b32 s0, s0, exec_lo
	s_delay_alu instid0(SALU_CYCLE_1)
	s_or_b32 s1, s1, s0
.LBB18_16:                              ;   in Loop: Header=BB18_14 Depth=1
	s_or_b32 exec_lo, exec_lo, s2
	s_delay_alu instid0(VALU_DEP_2)
	s_and_saveexec_b32 s0, s1
	s_cbranch_execz .LBB18_18
; %bb.17:                               ;   in Loop: Header=BB18_14 Depth=1
	s_waitcnt lgkmcnt(0)
	v_dual_mov_b32 v23, v25 :: v_dual_mov_b32 v24, v26
.LBB18_18:                              ;   in Loop: Header=BB18_14 Depth=1
	s_or_b32 exec_lo, exec_lo, s0
	s_waitcnt lgkmcnt(0)
	ds_bpermute_b32 v26, v19, v23
	ds_bpermute_b32 v25, v19, v24
	s_mov_b32 s2, exec_lo
	s_waitcnt lgkmcnt(1)
	v_cmp_lt_f32_e64 s1, v23, v26
	v_cmpx_nlt_f32_e32 v23, v26
	s_cbranch_execz .LBB18_20
; %bb.19:                               ;   in Loop: Header=BB18_14 Depth=1
	v_cmp_eq_f32_e32 vcc_lo, v23, v26
	s_waitcnt lgkmcnt(0)
	v_cmp_lt_i32_e64 s0, v25, v24
	s_and_not1_b32 s1, s1, exec_lo
	s_delay_alu instid0(VALU_DEP_1) | instskip(NEXT) | instid1(SALU_CYCLE_1)
	s_and_b32 s0, vcc_lo, s0
	s_and_b32 s0, s0, exec_lo
	s_delay_alu instid0(SALU_CYCLE_1)
	s_or_b32 s1, s1, s0
.LBB18_20:                              ;   in Loop: Header=BB18_14 Depth=1
	s_or_b32 exec_lo, exec_lo, s2
	s_delay_alu instid0(VALU_DEP_2)
	s_and_saveexec_b32 s0, s1
	s_cbranch_execz .LBB18_22
; %bb.21:                               ;   in Loop: Header=BB18_14 Depth=1
	s_waitcnt lgkmcnt(0)
	v_dual_mov_b32 v23, v26 :: v_dual_mov_b32 v24, v25
.LBB18_22:                              ;   in Loop: Header=BB18_14 Depth=1
	s_or_b32 exec_lo, exec_lo, s0
	ds_bpermute_b32 v26, v20, v23
	s_waitcnt lgkmcnt(1)
	ds_bpermute_b32 v25, v20, v24
	s_mov_b32 s2, exec_lo
	s_waitcnt lgkmcnt(1)
	v_cmp_lt_f32_e64 s1, v23, v26
	v_cmpx_nlt_f32_e32 v23, v26
	s_cbranch_execz .LBB18_24
; %bb.23:                               ;   in Loop: Header=BB18_14 Depth=1
	v_cmp_eq_f32_e32 vcc_lo, v23, v26
	s_waitcnt lgkmcnt(0)
	v_cmp_lt_i32_e64 s0, v25, v24
	s_and_not1_b32 s1, s1, exec_lo
	s_delay_alu instid0(VALU_DEP_1) | instskip(NEXT) | instid1(SALU_CYCLE_1)
	s_and_b32 s0, vcc_lo, s0
	s_and_b32 s0, s0, exec_lo
	s_delay_alu instid0(SALU_CYCLE_1)
	s_or_b32 s1, s1, s0
.LBB18_24:                              ;   in Loop: Header=BB18_14 Depth=1
	s_or_b32 exec_lo, exec_lo, s2
	s_delay_alu instid0(VALU_DEP_2)
	s_and_saveexec_b32 s0, s1
	s_cbranch_execz .LBB18_26
; %bb.25:                               ;   in Loop: Header=BB18_14 Depth=1
	s_waitcnt lgkmcnt(0)
	v_dual_mov_b32 v23, v26 :: v_dual_mov_b32 v24, v25
.LBB18_26:                              ;   in Loop: Header=BB18_14 Depth=1
	s_or_b32 exec_lo, exec_lo, s0
	ds_bpermute_b32 v26, v21, v23
	s_waitcnt lgkmcnt(1)
	ds_bpermute_b32 v25, v21, v24
	s_mov_b32 s2, exec_lo
	s_waitcnt lgkmcnt(1)
	v_cmp_lt_f32_e64 s1, v23, v26
	v_cmpx_nlt_f32_e32 v23, v26
	s_cbranch_execz .LBB18_28
; %bb.27:                               ;   in Loop: Header=BB18_14 Depth=1
	v_cmp_eq_f32_e32 vcc_lo, v23, v26
	s_waitcnt lgkmcnt(0)
	v_cmp_lt_i32_e64 s0, v25, v24
	s_and_not1_b32 s1, s1, exec_lo
	s_delay_alu instid0(VALU_DEP_1) | instskip(NEXT) | instid1(SALU_CYCLE_1)
	s_and_b32 s0, vcc_lo, s0
	s_and_b32 s0, s0, exec_lo
	s_delay_alu instid0(SALU_CYCLE_1)
	s_or_b32 s1, s1, s0
.LBB18_28:                              ;   in Loop: Header=BB18_14 Depth=1
	s_or_b32 exec_lo, exec_lo, s2
	s_delay_alu instid0(VALU_DEP_2)
	s_and_saveexec_b32 s0, s1
	s_cbranch_execz .LBB18_30
; %bb.29:                               ;   in Loop: Header=BB18_14 Depth=1
	s_waitcnt lgkmcnt(0)
	v_dual_mov_b32 v23, v26 :: v_dual_mov_b32 v24, v25
.LBB18_30:                              ;   in Loop: Header=BB18_14 Depth=1
	s_or_b32 exec_lo, exec_lo, s0
	s_waitcnt lgkmcnt(0)
	ds_bpermute_b32 v25, v22, v23
	ds_bpermute_b32 v26, v22, v24
	s_mov_b32 s2, exec_lo
	s_waitcnt lgkmcnt(1)
	v_cmp_lt_f32_e64 s1, v23, v25
	v_cmpx_nlt_f32_e32 v23, v25
	s_cbranch_execz .LBB18_32
; %bb.31:                               ;   in Loop: Header=BB18_14 Depth=1
	v_cmp_eq_f32_e32 vcc_lo, v23, v25
	s_waitcnt lgkmcnt(0)
	v_cmp_lt_i32_e64 s0, v26, v24
	s_and_not1_b32 s1, s1, exec_lo
	s_delay_alu instid0(VALU_DEP_1) | instskip(NEXT) | instid1(SALU_CYCLE_1)
	s_and_b32 s0, vcc_lo, s0
	s_and_b32 s0, s0, exec_lo
	s_delay_alu instid0(SALU_CYCLE_1)
	s_or_b32 s1, s1, s0
.LBB18_32:                              ;   in Loop: Header=BB18_14 Depth=1
	s_or_b32 exec_lo, exec_lo, s2
	s_delay_alu instid0(VALU_DEP_2)
	s_and_saveexec_b32 s0, s1
	s_cbranch_execz .LBB18_34
; %bb.33:                               ;   in Loop: Header=BB18_14 Depth=1
	s_waitcnt lgkmcnt(0)
	v_dual_mov_b32 v23, v25 :: v_dual_mov_b32 v24, v26
.LBB18_34:                              ;   in Loop: Header=BB18_14 Depth=1
	s_or_b32 exec_lo, exec_lo, s0
	s_delay_alu instid0(VALU_DEP_1) | instskip(NEXT) | instid1(VALU_DEP_1)
	v_and_b32_e32 v25, 31, v24
	v_cmp_eq_u32_e32 vcc_lo, v25, v12
	s_and_saveexec_b32 s1, vcc_lo
	s_cbranch_execz .LBB18_36
; %bb.35:                               ;   in Loop: Header=BB18_14 Depth=1
	v_ashrrev_i32_e32 v25, 31, v24
	s_delay_alu instid0(VALU_DEP_1) | instskip(NEXT) | instid1(VALU_DEP_1)
	v_lshrrev_b32_e32 v25, 27, v25
	v_add_nc_u32_e32 v25, v24, v25
	s_delay_alu instid0(VALU_DEP_1) | instskip(NEXT) | instid1(VALU_DEP_1)
	v_ashrrev_i32_e32 v25, 5, v25
	v_cmp_ne_u32_e64 s0, 3, v25
	s_delay_alu instid0(VALU_DEP_1) | instskip(SKIP_1) | instid1(VALU_DEP_1)
	v_cndmask_b32_e64 v9, 0xff800000, v9, s0
	v_cmp_ne_u32_e64 s0, 2, v25
	v_cndmask_b32_e64 v3, 0xff800000, v3, s0
	v_cmp_ne_u32_e64 s0, 1, v25
	s_delay_alu instid0(VALU_DEP_1) | instskip(SKIP_1) | instid1(VALU_DEP_1)
	v_cndmask_b32_e64 v2, 0xff800000, v2, s0
	v_cmp_ne_u32_e64 s0, 0, v25
	v_cndmask_b32_e64 v4, 0xff800000, v4, s0
.LBB18_36:                              ;   in Loop: Header=BB18_14 Depth=1
	s_or_b32 exec_lo, exec_lo, s1
	s_and_saveexec_b32 s0, vcc_lo
	s_cbranch_execz .LBB18_13
; %bb.37:                               ;   in Loop: Header=BB18_14 Depth=1
	v_add_f32_e32 v25, v18, v23
	global_store_b32 v[0:1], v24, off
	v_cndmask_b32_e64 v18, v18, v25, s3
	s_branch .LBB18_13
.LBB18_38:
	s_and_b32 vcc_lo, exec_lo, s3
	s_cbranch_vccz .LBB18_40
; %bb.39:
	v_xor_b32_e32 v0, 16, v15
	s_waitcnt vmcnt(2)
	v_xor_b32_e32 v1, 8, v15
	s_waitcnt vmcnt(1)
	v_xor_b32_e32 v2, 4, v15
	v_cmp_gt_i32_e32 vcc_lo, 32, v0
	v_cndmask_b32_e32 v0, v15, v0, vcc_lo
	v_cmp_gt_i32_e32 vcc_lo, 32, v1
	v_cndmask_b32_e32 v1, v15, v1, vcc_lo
	v_cmp_gt_i32_e32 vcc_lo, 32, v2
	s_delay_alu instid0(VALU_DEP_2)
	v_lshlrev_b32_e32 v1, 2, v1
	v_lshlrev_b32_e32 v0, 2, v0
	v_cndmask_b32_e32 v2, v15, v2, vcc_lo
	ds_bpermute_b32 v0, v0, v18
	v_lshlrev_b32_e32 v2, 2, v2
	s_waitcnt lgkmcnt(0)
	v_add_f32_e32 v0, v18, v0
	ds_bpermute_b32 v1, v1, v0
	s_waitcnt lgkmcnt(0)
	v_add_f32_e32 v0, v0, v1
	ds_bpermute_b32 v1, v2, v0
	v_xor_b32_e32 v2, 2, v15
	s_delay_alu instid0(VALU_DEP_1) | instskip(SKIP_1) | instid1(VALU_DEP_1)
	v_cmp_gt_i32_e32 vcc_lo, 32, v2
	v_cndmask_b32_e32 v2, v15, v2, vcc_lo
	v_lshlrev_b32_e32 v2, 2, v2
	s_waitcnt lgkmcnt(0)
	v_add_f32_e32 v0, v0, v1
	ds_bpermute_b32 v1, v2, v0
	v_xor_b32_e32 v2, 1, v15
	s_delay_alu instid0(VALU_DEP_1) | instskip(SKIP_1) | instid1(VALU_DEP_1)
	v_cmp_gt_i32_e32 vcc_lo, 32, v2
	v_cndmask_b32_e32 v2, v15, v2, vcc_lo
	v_lshlrev_b32_e32 v2, 2, v2
	s_waitcnt lgkmcnt(0)
	v_add_f32_e32 v0, v0, v1
	ds_bpermute_b32 v1, v2, v0
	v_max_f32_e64 v2, s6, s6
	s_waitcnt lgkmcnt(0)
	v_add_f32_e32 v0, v0, v1
	s_delay_alu instid0(VALU_DEP_1) | instskip(NEXT) | instid1(VALU_DEP_1)
	v_max_f32_e32 v0, v0, v2
	v_div_scale_f32 v1, null, v0, v0, 1.0
	v_div_scale_f32 v4, vcc_lo, 1.0, v0, 1.0
	s_delay_alu instid0(VALU_DEP_2) | instskip(SKIP_3) | instid1(VALU_DEP_1)
	v_rcp_f32_e32 v2, v1
	s_waitcnt vmcnt(0)
	s_waitcnt_depctr 0xfff
	v_fma_f32 v3, -v1, v2, 1.0
	v_fmac_f32_e32 v2, v3, v2
	s_delay_alu instid0(VALU_DEP_1) | instskip(NEXT) | instid1(VALU_DEP_1)
	v_mul_f32_e32 v3, v4, v2
	v_fma_f32 v9, -v1, v3, v4
	s_delay_alu instid0(VALU_DEP_1) | instskip(NEXT) | instid1(VALU_DEP_1)
	v_fmac_f32_e32 v3, v9, v2
	v_fma_f32 v1, -v1, v3, v4
	s_delay_alu instid0(VALU_DEP_1) | instskip(NEXT) | instid1(VALU_DEP_1)
	v_div_fmas_f32 v1, v1, v2, v3
	v_div_fixup_f32 v0, v1, v0, 1.0
	s_delay_alu instid0(VALU_DEP_1)
	v_mul_f32_e32 v17, v0, v17
	v_mul_f32_e32 v16, v0, v16
	;; [unrolled: 1-line block ×4, first 2 shown]
.LBB18_40:
	v_cmp_gt_i32_e64 s0, s5, v7
	v_cmp_gt_i32_e64 s1, s5, v6
	;; [unrolled: 1-line block ×4, first 2 shown]
	s_and_not1_b32 vcc_lo, exec_lo, s4
	s_cbranch_vccnz .LBB18_42
; %bb.41:
	s_waitcnt vmcnt(2)
	v_dual_max_f32 v0, v17, v17 :: v_dual_max_f32 v1, v16, v16
	v_xor_b32_e32 v4, 4, v15
	v_xor_b32_e32 v9, 2, v15
	;; [unrolled: 1-line block ×3, first 2 shown]
	s_waitcnt vmcnt(0)
	v_dual_max_f32 v0, 0xff800000, v0 :: v_dual_max_f32 v3, v13, v13
	v_cndmask_b32_e64 v13, v13, v13, s0
	s_mov_b32 s4, 0
	v_max_f32_e32 v2, v14, v14
	s_delay_alu instid0(VALU_DEP_3) | instskip(SKIP_1) | instid1(VALU_DEP_2)
	v_cndmask_b32_e64 v0, 0xff800000, v0, s3
	v_cndmask_b32_e64 v14, v14, v14, s0
	v_max_f32_e32 v1, v0, v1
	s_delay_alu instid0(VALU_DEP_1) | instskip(NEXT) | instid1(VALU_DEP_1)
	v_cndmask_b32_e64 v0, v0, v1, s0
	v_max_f32_e32 v1, v0, v2
	v_xor_b32_e32 v2, 16, v15
	s_delay_alu instid0(VALU_DEP_2) | instskip(NEXT) | instid1(VALU_DEP_2)
	v_cndmask_b32_e64 v0, v0, v1, s1
	v_cmp_gt_i32_e32 vcc_lo, 32, v2
	s_delay_alu instid0(VALU_DEP_2) | instskip(SKIP_1) | instid1(VALU_DEP_2)
	v_dual_cndmask_b32 v1, v15, v2 :: v_dual_max_f32 v2, v0, v3
	v_xor_b32_e32 v3, 8, v15
	v_lshlrev_b32_e32 v1, 2, v1
	s_delay_alu instid0(VALU_DEP_3) | instskip(NEXT) | instid1(VALU_DEP_3)
	v_cndmask_b32_e64 v0, v0, v2, s2
	v_cmp_gt_i32_e32 vcc_lo, 32, v3
	ds_bpermute_b32 v2, v1, v0
	s_waitcnt lgkmcnt(0)
	v_dual_max_f32 v2, v2, v2 :: v_dual_cndmask_b32 v3, v15, v3
	v_cmp_gt_i32_e32 vcc_lo, 32, v4
	s_delay_alu instid0(VALU_DEP_2)
	v_dual_max_f32 v0, v0, v2 :: v_dual_lshlrev_b32 v3, 2, v3
	v_cndmask_b32_e32 v4, v15, v4, vcc_lo
	v_cmp_gt_i32_e32 vcc_lo, 32, v9
	ds_bpermute_b32 v2, v3, v0
	v_dual_cndmask_b32 v9, v15, v9 :: v_dual_lshlrev_b32 v4, 2, v4
	v_cmp_gt_i32_e32 vcc_lo, 32, v10
	s_delay_alu instid0(VALU_DEP_2) | instskip(NEXT) | instid1(VALU_DEP_1)
	v_dual_cndmask_b32 v10, v15, v10 :: v_dual_lshlrev_b32 v9, 2, v9
	v_lshlrev_b32_e32 v10, 2, v10
	s_waitcnt lgkmcnt(0)
	v_max_f32_e32 v2, v2, v2
	s_delay_alu instid0(VALU_DEP_1) | instskip(SKIP_3) | instid1(VALU_DEP_1)
	v_max_f32_e32 v0, v0, v2
	ds_bpermute_b32 v2, v4, v0
	s_waitcnt lgkmcnt(0)
	v_max_f32_e32 v2, v2, v2
	v_max_f32_e32 v0, v0, v2
	ds_bpermute_b32 v2, v9, v0
	s_waitcnt lgkmcnt(0)
	v_max_f32_e32 v2, v2, v2
	s_delay_alu instid0(VALU_DEP_1) | instskip(SKIP_3) | instid1(VALU_DEP_1)
	v_max_f32_e32 v0, v0, v2
	ds_bpermute_b32 v2, v10, v0
	s_waitcnt lgkmcnt(0)
	v_max_f32_e32 v2, v2, v2
	v_max_f32_e32 v0, v0, v2
	s_delay_alu instid0(VALU_DEP_1) | instskip(SKIP_2) | instid1(VALU_DEP_3)
	v_sub_f32_e32 v15, v16, v0
	v_sub_f32_e32 v14, v14, v0
	;; [unrolled: 1-line block ×3, first 2 shown]
	v_dual_sub_f32 v0, v13, v0 :: v_dual_mul_f32 v17, 0x3fb8aa3b, v15
	s_delay_alu instid0(VALU_DEP_3) | instskip(NEXT) | instid1(VALU_DEP_3)
	v_mul_f32_e32 v21, 0x3fb8aa3b, v14
	v_cmp_ngt_f32_e32 vcc_lo, 0xc2ce8ed0, v2
	s_delay_alu instid0(VALU_DEP_3) | instskip(NEXT) | instid1(VALU_DEP_4)
	v_mul_f32_e32 v22, 0x3fb8aa3b, v0
	v_fma_f32 v13, 0x3fb8aa3b, v15, -v17
	v_rndne_f32_e32 v20, v17
	v_rndne_f32_e32 v23, v21
	s_delay_alu instid0(VALU_DEP_4) | instskip(NEXT) | instid1(VALU_DEP_4)
	v_rndne_f32_e32 v24, v22
	v_fmac_f32_e32 v13, 0x32a5705f, v15
	s_delay_alu instid0(VALU_DEP_4) | instskip(SKIP_1) | instid1(VALU_DEP_2)
	v_sub_f32_e32 v17, v17, v20
	v_cvt_i32_f32_e32 v20, v20
	v_add_f32_e32 v13, v17, v13
	v_fma_f32 v17, 0x3fb8aa3b, v0, -v22
	s_delay_alu instid0(VALU_DEP_2) | instskip(NEXT) | instid1(VALU_DEP_1)
	v_exp_f32_e32 v13, v13
	v_fmac_f32_e32 v17, 0x32a5705f, v0
	v_mul_f32_e32 v16, 0x3fb8aa3b, v2
	s_delay_alu instid0(VALU_DEP_1)
	v_fma_f32 v18, 0x3fb8aa3b, v2, -v16
	v_rndne_f32_e32 v19, v16
	s_waitcnt_depctr 0xfff
	v_ldexp_f32 v13, v13, v20
	v_fmac_f32_e32 v18, 0x32a5705f, v2
	v_sub_f32_e32 v16, v16, v19
	v_cvt_i32_f32_e32 v19, v19
	s_delay_alu instid0(VALU_DEP_2) | instskip(NEXT) | instid1(VALU_DEP_1)
	v_add_f32_e32 v16, v16, v18
	v_exp_f32_e32 v16, v16
	s_waitcnt_depctr 0xfff
	v_ldexp_f32 v16, v16, v19
	v_sub_f32_e32 v19, v22, v24
	s_delay_alu instid0(VALU_DEP_2) | instskip(SKIP_1) | instid1(VALU_DEP_3)
	v_cndmask_b32_e32 v16, 0, v16, vcc_lo
	v_cmp_ngt_f32_e32 vcc_lo, 0xc2ce8ed0, v15
	v_add_f32_e32 v17, v19, v17
	v_cndmask_b32_e32 v13, 0, v13, vcc_lo
	v_fma_f32 v18, 0x3fb8aa3b, v14, -v21
	v_sub_f32_e32 v21, v21, v23
	v_cmp_nlt_f32_e32 vcc_lo, 0x42b17218, v2
	s_delay_alu instid0(VALU_DEP_3) | instskip(SKIP_3) | instid1(VALU_DEP_3)
	v_fmac_f32_e32 v18, 0x32a5705f, v14
	v_cndmask_b32_e32 v2, 0x7f800000, v16, vcc_lo
	v_cmp_nlt_f32_e32 vcc_lo, 0x42b17218, v15
	v_exp_f32_e32 v16, v17
	v_add_f32_e32 v18, v21, v18
	v_cvt_i32_f32_e32 v21, v23
	v_cndmask_b32_e64 v2, 0, v2, s3
	v_cndmask_b32_e32 v13, 0x7f800000, v13, vcc_lo
	v_cmp_ngt_f32_e32 vcc_lo, 0xc2ce8ed0, v14
	v_exp_f32_e32 v18, v18
	v_cvt_i32_f32_e32 v15, v24
	s_delay_alu instid0(TRANS32_DEP_2) | instid1(VALU_DEP_1)
	v_ldexp_f32 v15, v16, v15
	s_waitcnt_depctr 0xfff
	v_ldexp_f32 v17, v18, v21
	s_delay_alu instid0(VALU_DEP_1) | instskip(SKIP_1) | instid1(VALU_DEP_2)
	v_dual_add_f32 v18, v13, v2 :: v_dual_cndmask_b32 v17, 0, v17
	v_cmp_nlt_f32_e32 vcc_lo, 0x42b17218, v14
	v_cndmask_b32_e64 v16, v2, v18, s0
	s_delay_alu instid0(VALU_DEP_3) | instskip(SKIP_1) | instid1(VALU_DEP_2)
	v_cndmask_b32_e32 v14, 0x7f800000, v17, vcc_lo
	v_cmp_ngt_f32_e32 vcc_lo, 0xc2ce8ed0, v0
	v_add_f32_e32 v17, v16, v14
	v_cndmask_b32_e32 v15, 0, v15, vcc_lo
	v_cmp_nlt_f32_e32 vcc_lo, 0x42b17218, v0
	s_delay_alu instid0(VALU_DEP_2) | instskip(NEXT) | instid1(VALU_DEP_4)
	v_cndmask_b32_e32 v0, 0x7f800000, v15, vcc_lo
	v_cndmask_b32_e64 v15, v16, v17, s1
	s_delay_alu instid0(VALU_DEP_1) | instskip(NEXT) | instid1(VALU_DEP_1)
	v_add_f32_e32 v16, v15, v0
	v_cndmask_b32_e64 v15, v15, v16, s2
	ds_bpermute_b32 v1, v1, v15
	s_waitcnt lgkmcnt(0)
	v_add_f32_e32 v1, v15, v1
	ds_bpermute_b32 v3, v3, v1
	s_waitcnt lgkmcnt(0)
	v_add_f32_e32 v1, v1, v3
	;; [unrolled: 3-line block ×5, first 2 shown]
	s_delay_alu instid0(VALU_DEP_1) | instskip(SKIP_1) | instid1(VALU_DEP_2)
	v_div_scale_f32 v3, null, v1, v1, 1.0
	v_div_scale_f32 v10, vcc_lo, 1.0, v1, 1.0
	v_rcp_f32_e32 v4, v3
	s_waitcnt_depctr 0xfff
	v_fma_f32 v9, -v3, v4, 1.0
	s_delay_alu instid0(VALU_DEP_1) | instskip(NEXT) | instid1(VALU_DEP_1)
	v_fmac_f32_e32 v4, v9, v4
	v_mul_f32_e32 v9, v10, v4
	s_delay_alu instid0(VALU_DEP_1) | instskip(NEXT) | instid1(VALU_DEP_1)
	v_fma_f32 v15, -v3, v9, v10
	v_fmac_f32_e32 v9, v15, v4
	s_delay_alu instid0(VALU_DEP_1) | instskip(NEXT) | instid1(VALU_DEP_1)
	v_fma_f32 v3, -v3, v9, v10
	v_div_fmas_f32 v3, v3, v4, v9
	v_dual_mov_b32 v4, s4 :: v_dual_mov_b32 v9, s4
	s_delay_alu instid0(VALU_DEP_2) | instskip(SKIP_1) | instid1(VALU_DEP_3)
	v_div_fixup_f32 v1, v3, v1, 1.0
	v_mov_b32_e32 v10, s4
	v_cndmask_b32_e64 v3, v4, v14, s1
	v_cndmask_b32_e64 v4, 0, v14, s1
	;; [unrolled: 1-line block ×6, first 2 shown]
	v_mul_f32_e32 v9, v2, v1
	v_mul_f32_e32 v4, v4, v1
	s_delay_alu instid0(VALU_DEP_3) | instskip(SKIP_1) | instid1(VALU_DEP_4)
	v_mul_f32_e32 v13, v13, v1
	v_mul_f32_e32 v1, v14, v1
	v_cndmask_b32_e64 v17, v2, v9, s3
	s_delay_alu instid0(VALU_DEP_4) | instskip(NEXT) | instid1(VALU_DEP_4)
	v_cndmask_b32_e64 v14, v3, v4, s1
	v_cndmask_b32_e64 v16, v10, v13, s0
	s_delay_alu instid0(VALU_DEP_4)
	v_cndmask_b32_e64 v13, v0, v1, s2
.LBB18_42:
	v_mul_lo_u32 v0, v8, s5
	s_mov_b32 s0, exec_lo
	s_waitcnt vmcnt(2)
	s_delay_alu instid0(VALU_DEP_1) | instskip(NEXT) | instid1(VALU_DEP_1)
	v_ashrrev_i32_e32 v1, 31, v0
	v_lshlrev_b64 v[0:1], 2, v[0:1]
	s_delay_alu instid0(VALU_DEP_1) | instskip(NEXT) | instid1(VALU_DEP_2)
	v_add_co_u32 v0, vcc_lo, s10, v0
	v_add_co_ci_u32_e32 v1, vcc_lo, s11, v1, vcc_lo
	v_cmpx_gt_i32_e64 s5, v12
	s_cbranch_execnz .LBB18_48
; %bb.43:
	s_or_b32 exec_lo, exec_lo, s0
	s_delay_alu instid0(SALU_CYCLE_1)
	s_mov_b32 s0, exec_lo
	v_cmpx_gt_i32_e64 s5, v7
	s_cbranch_execnz .LBB18_49
.LBB18_44:
	s_or_b32 exec_lo, exec_lo, s0
	s_delay_alu instid0(SALU_CYCLE_1)
	s_mov_b32 s0, exec_lo
	v_cmpx_gt_i32_e64 s5, v6
	s_cbranch_execnz .LBB18_50
.LBB18_45:
	s_or_b32 exec_lo, exec_lo, s0
	v_cmp_gt_i32_e32 vcc_lo, s5, v5
	s_and_b32 exec_lo, exec_lo, vcc_lo
	s_cbranch_execz .LBB18_47
.LBB18_46:
	v_add_co_u32 v0, vcc_lo, v0, v11
	v_add_co_ci_u32_e32 v1, vcc_lo, 0, v1, vcc_lo
	s_waitcnt vmcnt(1)
	v_mul_f32_e32 v2, s7, v13
	global_store_b32 v[0:1], v2, off offset:384
.LBB18_47:
	s_nop 0
	s_sendmsg sendmsg(MSG_DEALLOC_VGPRS)
	s_endpgm
.LBB18_48:
	s_waitcnt vmcnt(1)
	v_add_co_u32 v2, vcc_lo, v0, v11
	s_waitcnt vmcnt(0)
	v_add_co_ci_u32_e32 v3, vcc_lo, 0, v1, vcc_lo
	v_mul_f32_e32 v4, s7, v17
	global_store_b32 v[2:3], v4, off
	s_or_b32 exec_lo, exec_lo, s0
	s_delay_alu instid0(SALU_CYCLE_1)
	s_mov_b32 s0, exec_lo
	v_cmpx_gt_i32_e64 s5, v7
	s_cbranch_execz .LBB18_44
.LBB18_49:
	s_waitcnt vmcnt(1)
	v_add_co_u32 v2, vcc_lo, v0, v11
	s_waitcnt vmcnt(0)
	v_add_co_ci_u32_e32 v3, vcc_lo, 0, v1, vcc_lo
	v_mul_f32_e32 v4, s7, v16
	global_store_b32 v[2:3], v4, off offset:128
	s_or_b32 exec_lo, exec_lo, s0
	s_delay_alu instid0(SALU_CYCLE_1)
	s_mov_b32 s0, exec_lo
	v_cmpx_gt_i32_e64 s5, v6
	s_cbranch_execz .LBB18_45
.LBB18_50:
	s_waitcnt vmcnt(1)
	v_add_co_u32 v2, vcc_lo, v0, v11
	s_waitcnt vmcnt(0)
	v_add_co_ci_u32_e32 v3, vcc_lo, 0, v1, vcc_lo
	v_mul_f32_e32 v4, s7, v14
	global_store_b32 v[2:3], v4, off offset:256
	s_or_b32 exec_lo, exec_lo, s0
	v_cmp_gt_i32_e32 vcc_lo, s5, v5
	s_and_b32 exec_lo, exec_lo, vcc_lo
	s_cbranch_execnz .LBB18_46
	s_branch .LBB18_47
	.section	.rodata,"a",@progbits
	.p2align	6, 0x0
	.amdhsa_kernel _Z13topk_moe_cudaILi128ELb0EEvPKfPfPiS2_iiff15topk_moe_config
		.amdhsa_group_segment_fixed_size 0
		.amdhsa_private_segment_fixed_size 0
		.amdhsa_kernarg_size 312
		.amdhsa_user_sgpr_count 15
		.amdhsa_user_sgpr_dispatch_ptr 0
		.amdhsa_user_sgpr_queue_ptr 0
		.amdhsa_user_sgpr_kernarg_segment_ptr 1
		.amdhsa_user_sgpr_dispatch_id 0
		.amdhsa_user_sgpr_private_segment_size 0
		.amdhsa_wavefront_size32 1
		.amdhsa_uses_dynamic_stack 0
		.amdhsa_enable_private_segment 0
		.amdhsa_system_sgpr_workgroup_id_x 1
		.amdhsa_system_sgpr_workgroup_id_y 0
		.amdhsa_system_sgpr_workgroup_id_z 0
		.amdhsa_system_sgpr_workgroup_info 0
		.amdhsa_system_vgpr_workitem_id 1
		.amdhsa_next_free_vgpr 31
		.amdhsa_next_free_sgpr 16
		.amdhsa_reserve_vcc 1
		.amdhsa_float_round_mode_32 0
		.amdhsa_float_round_mode_16_64 0
		.amdhsa_float_denorm_mode_32 3
		.amdhsa_float_denorm_mode_16_64 3
		.amdhsa_dx10_clamp 1
		.amdhsa_ieee_mode 1
		.amdhsa_fp16_overflow 0
		.amdhsa_workgroup_processor_mode 1
		.amdhsa_memory_ordered 1
		.amdhsa_forward_progress 0
		.amdhsa_shared_vgpr_count 0
		.amdhsa_exception_fp_ieee_invalid_op 0
		.amdhsa_exception_fp_denorm_src 0
		.amdhsa_exception_fp_ieee_div_zero 0
		.amdhsa_exception_fp_ieee_overflow 0
		.amdhsa_exception_fp_ieee_underflow 0
		.amdhsa_exception_fp_ieee_inexact 0
		.amdhsa_exception_int_div_zero 0
	.end_amdhsa_kernel
	.section	.text._Z13topk_moe_cudaILi128ELb0EEvPKfPfPiS2_iiff15topk_moe_config,"axG",@progbits,_Z13topk_moe_cudaILi128ELb0EEvPKfPfPiS2_iiff15topk_moe_config,comdat
.Lfunc_end18:
	.size	_Z13topk_moe_cudaILi128ELb0EEvPKfPfPiS2_iiff15topk_moe_config, .Lfunc_end18-_Z13topk_moe_cudaILi128ELb0EEvPKfPfPiS2_iiff15topk_moe_config
                                        ; -- End function
	.section	.AMDGPU.csdata,"",@progbits
; Kernel info:
; codeLenInByte = 4956
; NumSgprs: 18
; NumVgprs: 31
; ScratchSize: 0
; MemoryBound: 0
; FloatMode: 240
; IeeeMode: 1
; LDSByteSize: 0 bytes/workgroup (compile time only)
; SGPRBlocks: 2
; VGPRBlocks: 3
; NumSGPRsForWavesPerEU: 18
; NumVGPRsForWavesPerEU: 31
; Occupancy: 16
; WaveLimiterHint : 1
; COMPUTE_PGM_RSRC2:SCRATCH_EN: 0
; COMPUTE_PGM_RSRC2:USER_SGPR: 15
; COMPUTE_PGM_RSRC2:TRAP_HANDLER: 0
; COMPUTE_PGM_RSRC2:TGID_X_EN: 1
; COMPUTE_PGM_RSRC2:TGID_Y_EN: 0
; COMPUTE_PGM_RSRC2:TGID_Z_EN: 0
; COMPUTE_PGM_RSRC2:TIDIG_COMP_CNT: 1
	.section	.text._Z13topk_moe_cudaILi256ELb0EEvPKfPfPiS2_iiff15topk_moe_config,"axG",@progbits,_Z13topk_moe_cudaILi256ELb0EEvPKfPfPiS2_iiff15topk_moe_config,comdat
	.protected	_Z13topk_moe_cudaILi256ELb0EEvPKfPfPiS2_iiff15topk_moe_config ; -- Begin function _Z13topk_moe_cudaILi256ELb0EEvPKfPfPiS2_iiff15topk_moe_config
	.globl	_Z13topk_moe_cudaILi256ELb0EEvPKfPfPiS2_iiff15topk_moe_config
	.p2align	8
	.type	_Z13topk_moe_cudaILi256ELb0EEvPKfPfPiS2_iiff15topk_moe_config,@function
_Z13topk_moe_cudaILi256ELb0EEvPKfPfPiS2_iiff15topk_moe_config: ; @_Z13topk_moe_cudaILi256ELb0EEvPKfPfPiS2_iiff15topk_moe_config
; %bb.0:
	s_clause 0x1
	s_load_b32 s2, s[0:1], 0x44
	s_load_b128 s[8:11], s[0:1], 0x20
	v_bfe_u32 v1, v0, 10, 10
	s_waitcnt lgkmcnt(0)
	s_lshr_b32 s2, s2, 16
	s_delay_alu instid0(VALU_DEP_1) | instid1(SALU_CYCLE_1)
	v_mad_u64_u32 v[24:25], null, s15, s2, v[1:2]
	s_mov_b32 s2, exec_lo
	s_delay_alu instid0(VALU_DEP_1)
	v_cmpx_gt_i32_e64 s8, v24
	s_cbranch_execz .LBB19_51
; %bb.1:
	s_clause 0x1
	s_load_b128 s[12:15], s[0:1], 0x0
	s_load_b64 s[4:5], s[0:1], 0x10
	v_lshlrev_b32_e32 v1, 8, v24
	v_dual_mov_b32 v3, 0 :: v_dual_and_b32 v28, 0x3ff, v0
	s_delay_alu instid0(VALU_DEP_2) | instskip(NEXT) | instid1(VALU_DEP_2)
	v_ashrrev_i32_e32 v2, 31, v1
	v_lshlrev_b32_e32 v27, 2, v28
	s_delay_alu instid0(VALU_DEP_2) | instskip(SKIP_1) | instid1(VALU_DEP_1)
	v_lshlrev_b64 v[25:26], 2, v[1:2]
	s_waitcnt lgkmcnt(0)
	v_add_co_u32 v0, vcc_lo, s12, v25
	s_delay_alu instid0(VALU_DEP_2) | instskip(NEXT) | instid1(VALU_DEP_2)
	v_add_co_ci_u32_e32 v2, vcc_lo, s13, v26, vcc_lo
	v_add_co_u32 v1, vcc_lo, v0, v27
	s_delay_alu instid0(VALU_DEP_2)
	v_add_co_ci_u32_e32 v2, vcc_lo, 0, v2, vcc_lo
	global_load_u16 v0, v3, s[0:1] offset:48
	s_clause 0x7
	global_load_b32 v8, v[1:2], off
	global_load_b32 v9, v[1:2], off offset:128
	global_load_b32 v10, v[1:2], off offset:256
	;; [unrolled: 1-line block ×7, first 2 shown]
	s_load_b32 s0, s[0:1], 0x30
	s_waitcnt lgkmcnt(0)
	s_bitcmp1_b32 s0, 16
	s_cselect_b32 s8, -1, 0
	s_delay_alu instid0(SALU_CYCLE_1)
	s_and_b32 vcc_lo, exec_lo, s8
	s_cbranch_vccnz .LBB19_4
; %bb.2:
	s_waitcnt vmcnt(8)
	v_and_b32_e32 v1, 1, v0
	s_delay_alu instid0(VALU_DEP_1)
	v_cmp_eq_u32_e32 vcc_lo, 0, v1
	s_cbranch_vccz .LBB19_5
; %bb.3:
	v_mbcnt_lo_u32_b32 v2, -1, 0
	s_waitcnt vmcnt(6)
	v_max3_f32 v1, v8, 0xff800000, v9
	s_delay_alu instid0(VALU_DEP_2) | instskip(SKIP_1) | instid1(VALU_DEP_2)
	v_xor_b32_e32 v3, 16, v2
	s_waitcnt vmcnt(4)
	v_max3_f32 v1, v1, v10, v11
	v_xor_b32_e32 v5, 8, v2
	v_xor_b32_e32 v6, 4, v2
	;; [unrolled: 1-line block ×3, first 2 shown]
	v_cmp_gt_i32_e32 vcc_lo, 32, v3
	s_waitcnt vmcnt(2)
	v_max3_f32 v1, v1, v12, v13
	v_xor_b32_e32 v16, 1, v2
	v_cndmask_b32_e32 v3, v2, v3, vcc_lo
	v_cmp_gt_i32_e32 vcc_lo, 32, v5
	s_waitcnt vmcnt(0)
	v_max3_f32 v1, v1, v14, v15
	v_cndmask_b32_e32 v5, v2, v5, vcc_lo
	v_cmp_gt_i32_e32 vcc_lo, 32, v6
	v_lshlrev_b32_e32 v3, 2, v3
	s_delay_alu instid0(VALU_DEP_3) | instskip(SKIP_4) | instid1(VALU_DEP_2)
	v_dual_cndmask_b32 v6, v2, v6 :: v_dual_lshlrev_b32 v5, 2, v5
	ds_bpermute_b32 v4, v3, v1
	v_cmp_gt_i32_e32 vcc_lo, 32, v7
	v_dual_cndmask_b32 v7, v2, v7 :: v_dual_lshlrev_b32 v6, 2, v6
	v_cmp_gt_i32_e32 vcc_lo, 32, v16
	v_dual_cndmask_b32 v2, v2, v16 :: v_dual_lshlrev_b32 v7, 2, v7
	s_delay_alu instid0(VALU_DEP_1) | instskip(SKIP_2) | instid1(VALU_DEP_1)
	v_lshlrev_b32_e32 v2, 2, v2
	s_waitcnt lgkmcnt(0)
	v_max_f32_e32 v4, v4, v4
	v_max_f32_e32 v1, v1, v4
	ds_bpermute_b32 v4, v5, v1
	s_waitcnt lgkmcnt(0)
	v_max_f32_e32 v4, v4, v4
	s_delay_alu instid0(VALU_DEP_1) | instskip(SKIP_3) | instid1(VALU_DEP_1)
	v_max_f32_e32 v1, v1, v4
	ds_bpermute_b32 v4, v6, v1
	s_waitcnt lgkmcnt(0)
	v_max_f32_e32 v4, v4, v4
	v_max_f32_e32 v1, v1, v4
	ds_bpermute_b32 v4, v7, v1
	s_waitcnt lgkmcnt(0)
	v_max_f32_e32 v4, v4, v4
	s_delay_alu instid0(VALU_DEP_1) | instskip(SKIP_3) | instid1(VALU_DEP_1)
	v_max_f32_e32 v1, v1, v4
	ds_bpermute_b32 v4, v2, v1
	s_waitcnt lgkmcnt(0)
	v_max_f32_e32 v4, v4, v4
	v_max_f32_e32 v1, v1, v4
	s_delay_alu instid0(VALU_DEP_1) | instskip(NEXT) | instid1(VALU_DEP_1)
	v_sub_f32_e32 v20, v13, v1
	v_mul_f32_e32 v32, 0x3fb8aa3b, v20
	s_delay_alu instid0(VALU_DEP_1) | instskip(SKIP_1) | instid1(VALU_DEP_2)
	v_rndne_f32_e32 v46, v32
	v_fma_f32 v45, 0x3fb8aa3b, v20, -v32
	v_sub_f32_e32 v32, v32, v46
	v_sub_f32_e32 v19, v12, v1
	;; [unrolled: 1-line block ×4, first 2 shown]
	v_cvt_i32_f32_e32 v46, v46
	s_delay_alu instid0(VALU_DEP_4) | instskip(NEXT) | instid1(VALU_DEP_4)
	v_dual_mul_f32 v31, 0x3fb8aa3b, v19 :: v_dual_sub_f32 v4, v8, v1
	v_mul_f32_e32 v23, 0x3fb8aa3b, v16
	s_delay_alu instid0(VALU_DEP_2) | instskip(NEXT) | instid1(VALU_DEP_3)
	v_rndne_f32_e32 v44, v31
	v_mul_f32_e32 v22, 0x3fb8aa3b, v4
	s_delay_alu instid0(VALU_DEP_3)
	v_fma_f32 v37, 0x3fb8aa3b, v16, -v23
	v_rndne_f32_e32 v38, v23
	v_cmp_ngt_f32_e32 vcc_lo, 0xc2ce8ed0, v4
	v_fma_f32 v43, 0x3fb8aa3b, v19, -v31
	v_fma_f32 v35, 0x3fb8aa3b, v4, -v22
	v_rndne_f32_e32 v36, v22
	v_mul_f32_e32 v29, 0x3fb8aa3b, v17
	v_dual_sub_f32 v18, v11, v1 :: v_dual_fmac_f32 v37, 0x32a5705f, v16
	s_delay_alu instid0(VALU_DEP_4) | instskip(NEXT) | instid1(VALU_DEP_4)
	v_fmac_f32_e32 v35, 0x32a5705f, v4
	v_sub_f32_e32 v22, v22, v36
	s_delay_alu instid0(VALU_DEP_4) | instskip(SKIP_3) | instid1(VALU_DEP_4)
	v_fma_f32 v39, 0x3fb8aa3b, v17, -v29
	v_cvt_i32_f32_e32 v36, v36
	v_mul_f32_e32 v30, 0x3fb8aa3b, v18
	v_rndne_f32_e32 v40, v29
	v_dual_add_f32 v22, v22, v35 :: v_dual_fmac_f32 v39, 0x32a5705f, v17
	v_fmac_f32_e32 v45, 0x32a5705f, v20
	s_delay_alu instid0(VALU_DEP_4) | instskip(SKIP_1) | instid1(VALU_DEP_4)
	v_fma_f32 v41, 0x3fb8aa3b, v18, -v30
	v_rndne_f32_e32 v42, v30
	v_exp_f32_e32 v22, v22
	s_delay_alu instid0(VALU_DEP_3) | instskip(NEXT) | instid1(VALU_DEP_3)
	v_dual_sub_f32 v23, v23, v38 :: v_dual_add_f32 v32, v32, v45
	v_fmac_f32_e32 v41, 0x32a5705f, v18
	s_delay_alu instid0(VALU_DEP_3) | instskip(SKIP_3) | instid1(VALU_DEP_4)
	v_dual_sub_f32 v30, v30, v42 :: v_dual_sub_f32 v29, v29, v40
	v_cvt_i32_f32_e32 v38, v38
	v_cvt_i32_f32_e32 v40, v40
	;; [unrolled: 1-line block ×3, first 2 shown]
	v_add_f32_e32 v30, v30, v41
	s_delay_alu instid0(TRANS32_DEP_1) | instskip(SKIP_3) | instid1(VALU_DEP_4)
	v_ldexp_f32 v22, v22, v36
	v_sub_f32_e32 v21, v14, v1
	v_sub_f32_e32 v1, v15, v1
	v_add_f32_e32 v29, v29, v39
	v_dual_add_f32 v23, v23, v37 :: v_dual_cndmask_b32 v22, 0, v22
	v_cmp_ngt_f32_e32 vcc_lo, 0xc2ce8ed0, v16
	s_delay_alu instid0(VALU_DEP_4) | instskip(NEXT) | instid1(VALU_DEP_4)
	v_mul_f32_e32 v34, 0x3fb8aa3b, v1
	v_exp_f32_e32 v29, v29
	s_delay_alu instid0(VALU_DEP_3)
	v_exp_f32_e32 v23, v23
	v_mul_f32_e32 v33, 0x3fb8aa3b, v21
	v_exp_f32_e32 v30, v30
	v_fma_f32 v49, 0x3fb8aa3b, v1, -v34
	v_rndne_f32_e32 v50, v34
	v_exp_f32_e32 v32, v32
	v_rndne_f32_e32 v48, v33
	v_fma_f32 v47, 0x3fb8aa3b, v21, -v33
	v_ldexp_f32 v29, v29, v40
	s_delay_alu instid0(TRANS32_DEP_3) | instskip(SKIP_3) | instid1(VALU_DEP_4)
	v_ldexp_f32 v23, v23, v38
	v_dual_sub_f32 v34, v34, v50 :: v_dual_fmac_f32 v49, 0x32a5705f, v1
	v_fmac_f32_e32 v43, 0x32a5705f, v19
	v_ldexp_f32 v30, v30, v42
	v_cndmask_b32_e32 v23, 0, v23, vcc_lo
	v_cmp_ngt_f32_e32 vcc_lo, 0xc2ce8ed0, v17
	v_add_f32_e32 v34, v34, v49
	v_ldexp_f32 v32, v32, v46
	v_cvt_i32_f32_e32 v35, v48
	v_cvt_i32_f32_e32 v37, v50
	v_cndmask_b32_e32 v29, 0, v29, vcc_lo
	v_cmp_nlt_f32_e32 vcc_lo, 0x42b17218, v4
	v_sub_f32_e32 v31, v31, v44
	v_cvt_i32_f32_e32 v44, v44
	v_exp_f32_e32 v34, v34
	s_delay_alu instid0(VALU_DEP_2) | instskip(SKIP_2) | instid1(VALU_DEP_3)
	v_dual_cndmask_b32 v4, 0x7f800000, v22 :: v_dual_add_f32 v31, v31, v43
	v_cmp_nlt_f32_e32 vcc_lo, 0x42b17218, v16
	v_sub_f32_e32 v33, v33, v48
	v_exp_f32_e32 v31, v31
	v_cndmask_b32_e32 v22, 0x7f800000, v23, vcc_lo
	v_cmp_ngt_f32_e32 vcc_lo, 0xc2ce8ed0, v18
	s_delay_alu instid0(TRANS32_DEP_2) | instskip(SKIP_3) | instid1(TRANS32_DEP_1)
	v_ldexp_f32 v34, v34, v37
	v_cndmask_b32_e32 v16, 0, v30, vcc_lo
	v_cmp_nlt_f32_e32 vcc_lo, 0x42b17218, v17
	v_add_f32_e32 v17, v4, v22
	v_ldexp_f32 v31, v31, v44
	v_cndmask_b32_e32 v23, 0x7f800000, v29, vcc_lo
	v_cmp_ngt_f32_e32 vcc_lo, 0xc2ce8ed0, v19
	s_delay_alu instid0(VALU_DEP_3)
	v_cndmask_b32_e32 v29, 0, v31, vcc_lo
	v_cmp_nlt_f32_e32 vcc_lo, 0x42b17218, v18
	v_cndmask_b32_e32 v30, 0x7f800000, v16, vcc_lo
	v_add_f32_e32 v16, v23, v17
	v_fmac_f32_e32 v47, 0x32a5705f, v21
	v_cmp_ngt_f32_e32 vcc_lo, 0xc2ce8ed0, v20
	s_delay_alu instid0(VALU_DEP_2) | instskip(SKIP_2) | instid1(VALU_DEP_3)
	v_dual_add_f32 v16, v30, v16 :: v_dual_add_f32 v33, v33, v47
	v_cndmask_b32_e32 v17, 0, v32, vcc_lo
	v_cmp_nlt_f32_e32 vcc_lo, 0x42b17218, v19
	v_exp_f32_e32 v33, v33
	v_cndmask_b32_e32 v29, 0x7f800000, v29, vcc_lo
	v_cmp_ngt_f32_e32 vcc_lo, 0xc2ce8ed0, v21
	s_delay_alu instid0(VALU_DEP_2) | instskip(SKIP_2) | instid1(VALU_DEP_1)
	v_add_f32_e32 v16, v29, v16
	s_waitcnt_depctr 0xfff
	v_ldexp_f32 v33, v33, v35
	v_cndmask_b32_e32 v18, 0, v33, vcc_lo
	v_cmp_nlt_f32_e32 vcc_lo, 0x42b17218, v20
	v_cndmask_b32_e32 v31, 0x7f800000, v17, vcc_lo
	v_cmp_ngt_f32_e32 vcc_lo, 0xc2ce8ed0, v1
	s_delay_alu instid0(VALU_DEP_2) | instskip(SKIP_3) | instid1(VALU_DEP_2)
	v_dual_add_f32 v16, v31, v16 :: v_dual_cndmask_b32 v17, 0, v34
	v_cmp_nlt_f32_e32 vcc_lo, 0x42b17218, v21
	v_cndmask_b32_e32 v32, 0x7f800000, v18, vcc_lo
	v_cmp_nlt_f32_e32 vcc_lo, 0x42b17218, v1
	v_dual_add_f32 v16, v32, v16 :: v_dual_cndmask_b32 v1, 0x7f800000, v17
	s_delay_alu instid0(VALU_DEP_1)
	v_add_f32_e32 v16, v1, v16
	ds_bpermute_b32 v3, v3, v16
	s_waitcnt lgkmcnt(0)
	v_add_f32_e32 v3, v16, v3
	ds_bpermute_b32 v5, v5, v3
	s_waitcnt lgkmcnt(0)
	;; [unrolled: 3-line block ×5, first 2 shown]
	v_add_f32_e32 v2, v3, v2
	s_delay_alu instid0(VALU_DEP_1) | instskip(SKIP_1) | instid1(VALU_DEP_2)
	v_div_scale_f32 v3, null, v2, v2, 1.0
	v_div_scale_f32 v7, vcc_lo, 1.0, v2, 1.0
	v_rcp_f32_e32 v5, v3
	s_waitcnt_depctr 0xfff
	v_fma_f32 v6, -v3, v5, 1.0
	s_delay_alu instid0(VALU_DEP_1) | instskip(NEXT) | instid1(VALU_DEP_1)
	v_fmac_f32_e32 v5, v6, v5
	v_mul_f32_e32 v6, v7, v5
	s_delay_alu instid0(VALU_DEP_1) | instskip(NEXT) | instid1(VALU_DEP_1)
	v_fma_f32 v16, -v3, v6, v7
	v_fmac_f32_e32 v6, v16, v5
	s_delay_alu instid0(VALU_DEP_1) | instskip(NEXT) | instid1(VALU_DEP_1)
	v_fma_f32 v3, -v3, v6, v7
	v_div_fmas_f32 v3, v3, v5, v6
	s_delay_alu instid0(VALU_DEP_1) | instskip(NEXT) | instid1(VALU_DEP_1)
	v_div_fixup_f32 v2, v3, v2, 1.0
	v_mul_f32_e32 v16, v4, v2
	v_mul_f32_e32 v17, v22, v2
	;; [unrolled: 1-line block ×8, first 2 shown]
	s_cbranch_execz .LBB19_6
	s_branch .LBB19_7
.LBB19_4:
	s_waitcnt vmcnt(7)
	v_mov_b32_e32 v16, v8
	s_branch .LBB19_8
.LBB19_5:
                                        ; implicit-def: $vgpr16
.LBB19_6:
	s_waitcnt vmcnt(6)
	v_dual_mul_f32 v1, 0xbfb8aa3b, v8 :: v_dual_mul_f32 v2, 0xbfb8aa3b, v9
	v_cmp_nlt_f32_e32 vcc_lo, 0x42ce8ed0, v8
	s_waitcnt vmcnt(4)
	v_cmp_nlt_f32_e64 s2, 0x42ce8ed0, v11
	s_delay_alu instid0(VALU_DEP_3) | instskip(SKIP_3) | instid1(VALU_DEP_3)
	v_rndne_f32_e32 v4, v1
	v_rndne_f32_e32 v6, v2
	v_fma_f32 v7, 0xbfb8aa3b, v9, -v2
	v_fma_f32 v5, 0xbfb8aa3b, v8, -v1
	v_dual_sub_f32 v1, v1, v4 :: v_dual_sub_f32 v2, v2, v6
	s_delay_alu instid0(VALU_DEP_3) | instskip(SKIP_3) | instid1(VALU_DEP_4)
	v_fmac_f32_e32 v7, 0xb2a5705f, v9
	v_mul_f32_e32 v3, 0xbfb8aa3b, v10
	v_cvt_i32_f32_e32 v6, v6
	v_cvt_i32_f32_e32 v4, v4
	v_add_f32_e32 v2, v2, v7
	s_delay_alu instid0(VALU_DEP_4) | instskip(SKIP_1) | instid1(VALU_DEP_3)
	v_rndne_f32_e32 v16, v3
	v_fma_f32 v17, 0xbfb8aa3b, v10, -v3
	v_exp_f32_e32 v2, v2
	s_delay_alu instid0(VALU_DEP_2) | instskip(SKIP_3) | instid1(VALU_DEP_1)
	v_cvt_i32_f32_e32 v7, v16
	s_waitcnt_depctr 0xfff
	v_ldexp_f32 v2, v2, v6
	v_fmac_f32_e32 v5, 0xb2a5705f, v8
	v_add_f32_e32 v1, v1, v5
	v_mul_f32_e32 v5, 0xbfb8aa3b, v11
	s_delay_alu instid0(VALU_DEP_2) | instskip(SKIP_3) | instid1(VALU_DEP_2)
	v_exp_f32_e32 v1, v1
	s_waitcnt_depctr 0xfff
	v_ldexp_f32 v1, v1, v4
	v_fma_f32 v4, 0xbfb8aa3b, v11, -v5
	v_cndmask_b32_e32 v1, 0, v1, vcc_lo
	v_cmp_nlt_f32_e32 vcc_lo, 0x42ce8ed0, v9
	s_delay_alu instid0(VALU_DEP_3) | instskip(SKIP_3) | instid1(VALU_DEP_2)
	v_fmac_f32_e32 v4, 0xb2a5705f, v11
	v_dual_cndmask_b32 v2, 0, v2 :: v_dual_sub_f32 v3, v3, v16
	v_rndne_f32_e32 v16, v5
	v_cmp_nlt_f32_e32 vcc_lo, 0x42ce8ed0, v10
	v_sub_f32_e32 v5, v5, v16
	v_fmac_f32_e32 v17, 0xb2a5705f, v10
	v_cvt_i32_f32_e32 v16, v16
	s_delay_alu instid0(VALU_DEP_2) | instskip(NEXT) | instid1(VALU_DEP_1)
	v_dual_add_f32 v4, v5, v4 :: v_dual_add_f32 v3, v3, v17
	v_exp_f32_e32 v4, v4
	s_delay_alu instid0(VALU_DEP_1) | instskip(SKIP_3) | instid1(VALU_DEP_2)
	v_exp_f32_e32 v3, v3
	s_waitcnt_depctr 0xfff
	v_ldexp_f32 v4, v4, v16
	v_ldexp_f32 v3, v3, v7
	v_cndmask_b32_e64 v4, 0, v4, s2
	s_delay_alu instid0(VALU_DEP_2) | instskip(SKIP_4) | instid1(VALU_DEP_2)
	v_cndmask_b32_e32 v3, 0, v3, vcc_lo
	v_cmp_ngt_f32_e32 vcc_lo, 0xc2b17218, v8
	v_cmp_ngt_f32_e64 s2, 0xc2b17218, v11
	s_waitcnt vmcnt(3)
	v_mul_f32_e32 v11, 0xbfb8aa3b, v12
	v_cndmask_b32_e64 v4, 0x7f800000, v4, s2
	v_cndmask_b32_e32 v1, 0x7f800000, v1, vcc_lo
	v_cmp_ngt_f32_e32 vcc_lo, 0xc2b17218, v9
	s_delay_alu instid0(VALU_DEP_2) | instskip(SKIP_2) | instid1(VALU_DEP_3)
	v_dual_add_f32 v4, 1.0, v4 :: v_dual_add_f32 v1, 1.0, v1
	v_cndmask_b32_e32 v2, 0x7f800000, v2, vcc_lo
	v_cmp_ngt_f32_e32 vcc_lo, 0xc2b17218, v10
	v_div_scale_f32 v6, null, v1, v1, 1.0
	s_delay_alu instid0(VALU_DEP_3) | instskip(NEXT) | instid1(VALU_DEP_2)
	v_add_f32_e32 v2, 1.0, v2
	v_rcp_f32_e32 v5, v6
	s_delay_alu instid0(VALU_DEP_1) | instskip(SKIP_1) | instid1(VALU_DEP_2)
	v_div_scale_f32 v7, null, v2, v2, 1.0
	v_div_scale_f32 v18, s0, 1.0, v2, 1.0
	v_rcp_f32_e32 v9, v7
	s_waitcnt_depctr 0xfff
	v_fma_f32 v19, -v6, v5, 1.0
	s_delay_alu instid0(VALU_DEP_1) | instskip(SKIP_3) | instid1(VALU_DEP_3)
	v_fmac_f32_e32 v5, v19, v5
	v_cndmask_b32_e32 v3, 0x7f800000, v3, vcc_lo
	v_fma_f32 v20, -v7, v9, 1.0
	v_div_scale_f32 v17, vcc_lo, 1.0, v1, 1.0
	v_add_f32_e32 v3, 1.0, v3
	s_delay_alu instid0(VALU_DEP_3) | instskip(NEXT) | instid1(VALU_DEP_3)
	v_fmac_f32_e32 v9, v20, v9
	v_mul_f32_e32 v16, v17, v5
	s_delay_alu instid0(VALU_DEP_3) | instskip(SKIP_1) | instid1(VALU_DEP_4)
	v_div_scale_f32 v8, null, v3, v3, 1.0
	v_div_scale_f32 v22, s1, 1.0, v3, 1.0
	v_mul_f32_e32 v19, v18, v9
	s_delay_alu instid0(VALU_DEP_3) | instskip(NEXT) | instid1(VALU_DEP_1)
	v_rcp_f32_e32 v10, v8
	v_fma_f32 v23, -v7, v19, v18
	s_delay_alu instid0(VALU_DEP_1) | instskip(SKIP_3) | instid1(VALU_DEP_2)
	v_fmac_f32_e32 v19, v23, v9
	s_waitcnt_depctr 0xfff
	v_fma_f32 v21, -v8, v10, 1.0
	v_fma_f32 v7, -v7, v19, v18
	v_fmac_f32_e32 v10, v21, v10
	v_fma_f32 v21, -v6, v16, v17
	s_delay_alu instid0(VALU_DEP_2) | instskip(NEXT) | instid1(VALU_DEP_2)
	v_mul_f32_e32 v20, v22, v10
	v_fmac_f32_e32 v16, v21, v5
	v_div_scale_f32 v21, null, v4, v4, 1.0
	s_delay_alu instid0(VALU_DEP_3) | instskip(NEXT) | instid1(VALU_DEP_3)
	v_fma_f32 v29, -v8, v20, v22
	v_fma_f32 v6, -v6, v16, v17
	v_fma_f32 v17, 0xbfb8aa3b, v12, -v11
	s_delay_alu instid0(VALU_DEP_3) | instskip(NEXT) | instid1(VALU_DEP_3)
	v_fmac_f32_e32 v20, v29, v10
	v_div_fmas_f32 v5, v6, v5, v16
	s_mov_b32 vcc_lo, s0
	s_delay_alu instid0(VALU_DEP_3)
	v_fmac_f32_e32 v17, 0xb2a5705f, v12
	v_div_fmas_f32 v6, v7, v9, v19
	v_fma_f32 v8, -v8, v20, v22
	v_rndne_f32_e32 v22, v11
	s_mov_b32 vcc_lo, s1
	v_rcp_f32_e32 v9, v21
	s_waitcnt vmcnt(0)
	v_mul_f32_e32 v19, 0xbfb8aa3b, v15
	v_div_fmas_f32 v8, v8, v10, v20
	v_dual_sub_f32 v7, v11, v22 :: v_dual_mul_f32 v10, 0xbfb8aa3b, v13
	v_cmp_nlt_f32_e32 vcc_lo, 0x42ce8ed0, v12
	s_delay_alu instid0(VALU_DEP_3) | instskip(NEXT) | instid1(VALU_DEP_3)
	v_div_fixup_f32 v18, v8, v3, 1.0
	v_add_f32_e32 v7, v7, v17
	v_div_fixup_f32 v17, v6, v2, 1.0
	v_rndne_f32_e32 v2, v10
	v_fma_f32 v3, 0xbfb8aa3b, v13, -v10
	v_fma_f32 v6, -v21, v9, 1.0
	s_delay_alu instid0(VALU_DEP_3)
	v_sub_f32_e32 v8, v10, v2
	v_div_fixup_f32 v16, v5, v1, 1.0
	v_mul_f32_e32 v5, 0xbfb8aa3b, v14
	v_exp_f32_e32 v1, v7
	v_fmac_f32_e32 v3, 0xb2a5705f, v13
	v_cvt_i32_f32_e32 v7, v22
	v_cvt_i32_f32_e32 v2, v2
	v_rndne_f32_e32 v10, v5
	v_fma_f32 v11, 0xbfb8aa3b, v14, -v5
	v_add_f32_e32 v3, v8, v3
	v_fma_f32 v8, 0xbfb8aa3b, v15, -v19
	v_fmac_f32_e32 v9, v6, v9
	v_sub_f32_e32 v5, v5, v10
	v_fmac_f32_e32 v11, 0xb2a5705f, v14
	v_ldexp_f32 v1, v1, v7
	v_exp_f32_e32 v3, v3
	v_rndne_f32_e32 v7, v19
	v_fmac_f32_e32 v8, 0xb2a5705f, v15
	v_add_f32_e32 v5, v5, v11
	v_cndmask_b32_e32 v1, 0, v1, vcc_lo
	v_cmp_ngt_f32_e32 vcc_lo, 0xc2b17218, v12
	v_sub_f32_e32 v11, v19, v7
	v_cvt_i32_f32_e32 v6, v10
	v_exp_f32_e32 v5, v5
	v_cndmask_b32_e32 v1, 0x7f800000, v1, vcc_lo
	v_ldexp_f32 v2, v3, v2
	v_cmp_nlt_f32_e32 vcc_lo, 0x42ce8ed0, v13
	s_delay_alu instid0(VALU_DEP_3) | instskip(NEXT) | instid1(VALU_DEP_3)
	v_dual_add_f32 v8, v11, v8 :: v_dual_add_f32 v1, 1.0, v1
	v_cndmask_b32_e32 v2, 0, v2, vcc_lo
	s_waitcnt_depctr 0xfff
	v_ldexp_f32 v5, v5, v6
	v_cmp_nlt_f32_e32 vcc_lo, 0x42ce8ed0, v14
	v_exp_f32_e32 v3, v8
	v_cvt_i32_f32_e32 v6, v7
	v_div_scale_f32 v8, null, v1, v1, 1.0
	v_cndmask_b32_e32 v5, 0, v5, vcc_lo
	v_cmp_ngt_f32_e32 vcc_lo, 0xc2b17218, v13
	v_cndmask_b32_e32 v2, 0x7f800000, v2, vcc_lo
	v_cmp_ngt_f32_e32 vcc_lo, 0xc2b17218, v14
	s_delay_alu instid0(TRANS32_DEP_1) | instskip(SKIP_1) | instid1(VALU_DEP_3)
	v_ldexp_f32 v3, v3, v6
	v_rcp_f32_e32 v6, v8
	v_dual_add_f32 v2, 1.0, v2 :: v_dual_cndmask_b32 v5, 0x7f800000, v5
	v_cmp_nlt_f32_e32 vcc_lo, 0x42ce8ed0, v15
	s_delay_alu instid0(VALU_DEP_2) | instskip(SKIP_3) | instid1(VALU_DEP_4)
	v_div_scale_f32 v7, null, v2, v2, 1.0
	v_cndmask_b32_e32 v3, 0, v3, vcc_lo
	v_cmp_ngt_f32_e32 vcc_lo, 0xc2b17218, v15
	v_add_f32_e32 v5, 1.0, v5
	v_rcp_f32_e32 v12, v7
	s_delay_alu instid0(TRANS32_DEP_2) | instskip(SKIP_1) | instid1(VALU_DEP_3)
	v_fma_f32 v13, -v8, v6, 1.0
	v_cndmask_b32_e32 v3, 0x7f800000, v3, vcc_lo
	v_div_scale_f32 v10, null, v5, v5, 1.0
	v_div_scale_f32 v11, vcc_lo, 1.0, v4, 1.0
	s_delay_alu instid0(VALU_DEP_3) | instskip(NEXT) | instid1(VALU_DEP_3)
	v_add_f32_e32 v3, 1.0, v3
	v_rcp_f32_e32 v14, v10
	s_delay_alu instid0(TRANS32_DEP_2) | instskip(NEXT) | instid1(VALU_DEP_3)
	v_fma_f32 v20, -v7, v12, 1.0
	v_dual_mul_f32 v15, v11, v9 :: v_dual_fmac_f32 v6, v13, v6
	s_delay_alu instid0(VALU_DEP_3) | instskip(SKIP_1) | instid1(VALU_DEP_3)
	v_div_scale_f32 v19, null, v3, v3, 1.0
	v_div_scale_f32 v13, s0, 1.0, v1, 1.0
	v_fma_f32 v23, -v21, v15, v11
	s_delay_alu instid0(VALU_DEP_3) | instskip(NEXT) | instid1(TRANS32_DEP_2)
	v_rcp_f32_e32 v22, v19
	v_fma_f32 v29, -v10, v14, 1.0
	v_fmac_f32_e32 v12, v20, v12
	v_div_scale_f32 v20, s1, 1.0, v2, 1.0
	v_mul_f32_e32 v30, v13, v6
	s_delay_alu instid0(VALU_DEP_4) | instskip(SKIP_2) | instid1(TRANS32_DEP_1)
	v_fmac_f32_e32 v14, v29, v14
	v_div_scale_f32 v29, s2, 1.0, v5, 1.0
	v_fmac_f32_e32 v15, v23, v9
	v_fma_f32 v31, -v19, v22, 1.0
	v_mul_f32_e32 v32, v20, v12
	v_fma_f32 v23, -v8, v30, v13
	v_mul_f32_e32 v33, v29, v14
	v_fma_f32 v11, -v21, v15, v11
	v_fmac_f32_e32 v22, v31, v22
	v_div_scale_f32 v31, s3, 1.0, v3, 1.0
	v_fma_f32 v21, -v7, v32, v20
	v_fmac_f32_e32 v30, v23, v6
	v_fma_f32 v23, -v10, v33, v29
	s_delay_alu instid0(VALU_DEP_4)
	v_mul_f32_e32 v34, v31, v22
	v_div_fmas_f32 v9, v11, v9, v15
	v_fmac_f32_e32 v32, v21, v12
	v_fma_f32 v8, -v8, v30, v13
	v_fmac_f32_e32 v33, v23, v14
	v_fma_f32 v11, -v19, v34, v31
	s_mov_b32 vcc_lo, s0
	v_fma_f32 v7, -v7, v32, v20
	v_div_fmas_f32 v6, v8, v6, v30
	v_fma_f32 v8, -v10, v33, v29
	v_fmac_f32_e32 v34, v11, v22
	s_mov_b32 vcc_lo, s1
	v_div_fmas_f32 v7, v7, v12, v32
	s_mov_b32 vcc_lo, s2
	s_delay_alu instid0(VALU_DEP_2)
	v_fma_f32 v10, -v19, v34, v31
	v_div_fmas_f32 v8, v8, v14, v33
	s_mov_b32 vcc_lo, s3
	v_div_fixup_f32 v19, v9, v4, 1.0
	v_div_fixup_f32 v20, v6, v1, 1.0
	v_div_fmas_f32 v10, v10, v22, v34
	v_div_fixup_f32 v21, v7, v2, 1.0
	v_div_fixup_f32 v22, v8, v5, 1.0
	s_delay_alu instid0(VALU_DEP_3)
	v_div_fixup_f32 v23, v10, v3, 1.0
.LBB19_7:
	s_waitcnt vmcnt(0)
	v_dual_mov_b32 v8, v16 :: v_dual_mov_b32 v9, v17
	v_dual_mov_b32 v10, v18 :: v_dual_mov_b32 v11, v19
	;; [unrolled: 1-line block ×4, first 2 shown]
.LBB19_8:
	v_lshrrev_b16 v0, 8, v0
	s_cmp_gt_i32 s9, 0
	s_delay_alu instid0(VALU_DEP_1)
	v_readfirstlane_b32 s0, v0
	s_cbranch_scc1 .LBB19_10
; %bb.9:
	s_delay_alu instid0(VALU_DEP_1)
	s_bitcmp1_b32 s0, 0
	s_mov_b32 s2, 0
	s_mov_b32 s3, 0
	s_cselect_b32 s1, -1, 0
	s_branch .LBB19_11
.LBB19_10:
	s_mov_b32 s2, -1
                                        ; implicit-def: $sgpr3
                                        ; implicit-def: $sgpr1
.LBB19_11:
	v_dual_mov_b32 v7, s3 :: v_dual_add_nc_u32 v30, 32, v28
	v_dual_mov_b32 v6, s3 :: v_dual_add_nc_u32 v29, 64, v28
	;; [unrolled: 1-line block ×7, first 2 shown]
	v_mbcnt_lo_u32_b32 v31, -1, 0
	v_dual_mov_b32 v1, s3 :: v_dual_mov_b32 v32, s3
	s_and_not1_b32 vcc_lo, exec_lo, s2
	s_cbranch_vccnz .LBB19_38
; %bb.12:
	v_add_co_u32 v17, vcc_lo, s4, v25
	v_add_co_ci_u32_e32 v18, vcc_lo, s5, v26, vcc_lo
	v_cmp_o_f32_e32 vcc_lo, v16, v16
	v_mov_b32_e32 v32, 0
	v_xor_b32_e32 v0, 16, v31
	v_xor_b32_e32 v1, 8, v31
	v_xor_b32_e32 v2, 2, v31
	v_cndmask_b32_e32 v8, 0xff7fffff, v8, vcc_lo
	s_waitcnt vmcnt(6)
	v_cmp_o_f32_e32 vcc_lo, v9, v9
	v_xor_b32_e32 v3, 1, v31
	v_mov_b32_e32 v6, v32
	s_bitcmp1_b32 s0, 0
	s_mov_b32 s2, 0
	v_cndmask_b32_e32 v9, 0xff7fffff, v9, vcc_lo
	s_waitcnt vmcnt(5)
	v_cmp_o_f32_e32 vcc_lo, v10, v10
	s_cselect_b32 s1, -1, 0
	v_mov_b32_e32 v5, v32
	v_mov_b32_e32 v7, v32
	;; [unrolled: 1-line block ×3, first 2 shown]
	v_cndmask_b32_e32 v10, 0xff7fffff, v10, vcc_lo
	s_waitcnt vmcnt(4)
	v_cmp_o_f32_e32 vcc_lo, v11, v11
	v_cndmask_b32_e32 v11, 0xff7fffff, v11, vcc_lo
	s_waitcnt vmcnt(3)
	v_cmp_o_f32_e32 vcc_lo, v12, v12
	v_cndmask_b32_e32 v12, 0xff7fffff, v12, vcc_lo
	s_waitcnt vmcnt(2)
	v_cmp_o_f32_e32 vcc_lo, v13, v13
	v_cndmask_b32_e32 v13, 0xff7fffff, v13, vcc_lo
	v_cmp_gt_i32_e32 vcc_lo, 32, v0
	v_cndmask_b32_e32 v0, v31, v0, vcc_lo
	s_waitcnt vmcnt(1)
	v_cmp_o_f32_e32 vcc_lo, v14, v14
	s_delay_alu instid0(VALU_DEP_2)
	v_lshlrev_b32_e32 v16, 2, v0
	v_cndmask_b32_e32 v14, 0xff7fffff, v14, vcc_lo
	s_waitcnt vmcnt(0)
	v_cmp_o_f32_e32 vcc_lo, v15, v15
	v_xor_b32_e32 v0, 4, v31
	v_cndmask_b32_e32 v15, 0xff7fffff, v15, vcc_lo
	v_cmp_gt_i32_e32 vcc_lo, 32, v1
	v_cndmask_b32_e32 v1, v31, v1, vcc_lo
	s_delay_alu instid0(VALU_DEP_4) | instskip(SKIP_2) | instid1(VALU_DEP_2)
	v_cmp_gt_i32_e32 vcc_lo, 32, v0
	v_cndmask_b32_e32 v0, v31, v0, vcc_lo
	v_cmp_gt_i32_e32 vcc_lo, 32, v2
	v_lshlrev_b32_e32 v26, 2, v0
	v_cndmask_b32_e32 v2, v31, v2, vcc_lo
	v_cmp_gt_i32_e32 vcc_lo, 32, v3
	s_delay_alu instid0(VALU_DEP_2) | instskip(SKIP_2) | instid1(VALU_DEP_2)
	v_dual_mov_b32 v0, 0 :: v_dual_lshlrev_b32 v33, 2, v2
	v_dual_cndmask_b32 v3, v31, v3 :: v_dual_mov_b32 v2, v32
	v_lshlrev_b32_e32 v25, 2, v1
	v_dual_mov_b32 v1, v32 :: v_dual_lshlrev_b32 v34, 2, v3
	v_mov_b32_e32 v3, v32
	s_branch .LBB19_14
.LBB19_13:                              ;   in Loop: Header=BB19_14 Depth=1
	s_or_b32 exec_lo, exec_lo, s0
	s_and_b32 s3, s2, 31
	s_waitcnt lgkmcnt(0)
	v_dual_mov_b32 v43, v7 :: v_dual_mov_b32 v42, v6
	v_dual_mov_b32 v37, v1 :: v_dual_mov_b32 v36, v0
	v_cmp_eq_u32_e32 vcc_lo, s3, v28
	s_lshr_b32 s0, s2, 5
	v_dual_mov_b32 v41, v5 :: v_dual_mov_b32 v40, v4
	s_mov_b32 m0, s0
	v_dual_mov_b32 v39, v3 :: v_dual_mov_b32 v38, v2
	v_movreld_b32_e32 v36, v35
	v_dual_cndmask_b32 v0, v0, v36 :: v_dual_cndmask_b32 v1, v1, v37
	s_delay_alu instid0(VALU_DEP_3)
	v_dual_cndmask_b32 v2, v2, v38 :: v_dual_cndmask_b32 v3, v3, v39
	v_dual_cndmask_b32 v4, v4, v40 :: v_dual_cndmask_b32 v5, v5, v41
	;; [unrolled: 1-line block ×3, first 2 shown]
	v_add_co_u32 v17, vcc_lo, v17, 4
	v_add_co_ci_u32_e32 v18, vcc_lo, 0, v18, vcc_lo
	s_add_i32 s2, s2, 1
	s_delay_alu instid0(SALU_CYCLE_1)
	s_cmp_eq_u32 s9, s2
	s_cbranch_scc1 .LBB19_38
.LBB19_14:                              ; =>This Inner Loop Header: Depth=1
	v_cmp_gt_f32_e32 vcc_lo, v9, v8
	s_mov_b32 s4, exec_lo
	v_cndmask_b32_e32 v35, v8, v9, vcc_lo
	s_delay_alu instid0(VALU_DEP_1) | instskip(NEXT) | instid1(VALU_DEP_1)
	v_cmp_gt_f32_e64 s0, v10, v35
	v_cndmask_b32_e64 v35, v35, v10, s0
	v_cndmask_b32_e32 v36, v28, v30, vcc_lo
	s_delay_alu instid0(VALU_DEP_2) | instskip(SKIP_1) | instid1(VALU_DEP_3)
	v_cmp_gt_f32_e32 vcc_lo, v11, v35
	v_cndmask_b32_e32 v35, v35, v11, vcc_lo
	v_cndmask_b32_e64 v36, v36, v29, s0
	s_delay_alu instid0(VALU_DEP_2) | instskip(NEXT) | instid1(VALU_DEP_1)
	v_cmp_gt_f32_e64 s0, v12, v35
	v_cndmask_b32_e64 v35, v35, v12, s0
	s_delay_alu instid0(VALU_DEP_3) | instskip(NEXT) | instid1(VALU_DEP_2)
	v_cndmask_b32_e32 v36, v36, v23, vcc_lo
	v_cmp_gt_f32_e32 vcc_lo, v13, v35
	v_cndmask_b32_e32 v35, v35, v13, vcc_lo
	s_delay_alu instid0(VALU_DEP_3) | instskip(NEXT) | instid1(VALU_DEP_2)
	v_cndmask_b32_e64 v36, v36, v22, s0
	v_cmp_gt_f32_e64 s0, v14, v35
	s_delay_alu instid0(VALU_DEP_1) | instskip(NEXT) | instid1(VALU_DEP_3)
	v_cndmask_b32_e64 v35, v35, v14, s0
	v_cndmask_b32_e32 v36, v36, v21, vcc_lo
	s_delay_alu instid0(VALU_DEP_2) | instskip(SKIP_1) | instid1(VALU_DEP_3)
	v_cmp_gt_f32_e32 vcc_lo, v15, v35
	v_cndmask_b32_e32 v35, v35, v15, vcc_lo
	v_cndmask_b32_e64 v36, v36, v20, s0
	ds_bpermute_b32 v37, v16, v35
	v_cndmask_b32_e32 v36, v36, v19, vcc_lo
	ds_bpermute_b32 v38, v16, v36
	s_waitcnt lgkmcnt(1)
	v_cmp_lt_f32_e64 s3, v35, v37
	v_cmpx_nlt_f32_e32 v35, v37
	s_cbranch_execz .LBB19_16
; %bb.15:                               ;   in Loop: Header=BB19_14 Depth=1
	v_cmp_eq_f32_e32 vcc_lo, v35, v37
	s_waitcnt lgkmcnt(0)
	v_cmp_lt_i32_e64 s0, v38, v36
	s_and_not1_b32 s3, s3, exec_lo
	s_delay_alu instid0(VALU_DEP_1) | instskip(NEXT) | instid1(SALU_CYCLE_1)
	s_and_b32 s0, vcc_lo, s0
	s_and_b32 s0, s0, exec_lo
	s_delay_alu instid0(SALU_CYCLE_1)
	s_or_b32 s3, s3, s0
.LBB19_16:                              ;   in Loop: Header=BB19_14 Depth=1
	s_or_b32 exec_lo, exec_lo, s4
	s_delay_alu instid0(VALU_DEP_2)
	s_and_saveexec_b32 s0, s3
	s_cbranch_execz .LBB19_18
; %bb.17:                               ;   in Loop: Header=BB19_14 Depth=1
	s_waitcnt lgkmcnt(0)
	v_dual_mov_b32 v35, v37 :: v_dual_mov_b32 v36, v38
.LBB19_18:                              ;   in Loop: Header=BB19_14 Depth=1
	s_or_b32 exec_lo, exec_lo, s0
	s_waitcnt lgkmcnt(0)
	ds_bpermute_b32 v38, v25, v35
	ds_bpermute_b32 v37, v25, v36
	s_mov_b32 s4, exec_lo
	s_waitcnt lgkmcnt(1)
	v_cmp_lt_f32_e64 s3, v35, v38
	v_cmpx_nlt_f32_e32 v35, v38
	s_cbranch_execz .LBB19_20
; %bb.19:                               ;   in Loop: Header=BB19_14 Depth=1
	v_cmp_eq_f32_e32 vcc_lo, v35, v38
	s_waitcnt lgkmcnt(0)
	v_cmp_lt_i32_e64 s0, v37, v36
	s_and_not1_b32 s3, s3, exec_lo
	s_delay_alu instid0(VALU_DEP_1) | instskip(NEXT) | instid1(SALU_CYCLE_1)
	s_and_b32 s0, vcc_lo, s0
	s_and_b32 s0, s0, exec_lo
	s_delay_alu instid0(SALU_CYCLE_1)
	s_or_b32 s3, s3, s0
.LBB19_20:                              ;   in Loop: Header=BB19_14 Depth=1
	s_or_b32 exec_lo, exec_lo, s4
	s_delay_alu instid0(VALU_DEP_2)
	s_and_saveexec_b32 s0, s3
	s_cbranch_execz .LBB19_22
; %bb.21:                               ;   in Loop: Header=BB19_14 Depth=1
	s_waitcnt lgkmcnt(0)
	v_dual_mov_b32 v35, v38 :: v_dual_mov_b32 v36, v37
.LBB19_22:                              ;   in Loop: Header=BB19_14 Depth=1
	s_or_b32 exec_lo, exec_lo, s0
	ds_bpermute_b32 v38, v26, v35
	s_waitcnt lgkmcnt(1)
	ds_bpermute_b32 v37, v26, v36
	s_mov_b32 s4, exec_lo
	s_waitcnt lgkmcnt(1)
	v_cmp_lt_f32_e64 s3, v35, v38
	v_cmpx_nlt_f32_e32 v35, v38
	s_cbranch_execz .LBB19_24
; %bb.23:                               ;   in Loop: Header=BB19_14 Depth=1
	v_cmp_eq_f32_e32 vcc_lo, v35, v38
	s_waitcnt lgkmcnt(0)
	v_cmp_lt_i32_e64 s0, v37, v36
	s_and_not1_b32 s3, s3, exec_lo
	s_delay_alu instid0(VALU_DEP_1) | instskip(NEXT) | instid1(SALU_CYCLE_1)
	s_and_b32 s0, vcc_lo, s0
	s_and_b32 s0, s0, exec_lo
	s_delay_alu instid0(SALU_CYCLE_1)
	s_or_b32 s3, s3, s0
.LBB19_24:                              ;   in Loop: Header=BB19_14 Depth=1
	s_or_b32 exec_lo, exec_lo, s4
	s_delay_alu instid0(VALU_DEP_2)
	s_and_saveexec_b32 s0, s3
	s_cbranch_execz .LBB19_26
; %bb.25:                               ;   in Loop: Header=BB19_14 Depth=1
	s_waitcnt lgkmcnt(0)
	v_dual_mov_b32 v35, v38 :: v_dual_mov_b32 v36, v37
.LBB19_26:                              ;   in Loop: Header=BB19_14 Depth=1
	s_or_b32 exec_lo, exec_lo, s0
	ds_bpermute_b32 v38, v33, v35
	s_waitcnt lgkmcnt(1)
	ds_bpermute_b32 v37, v33, v36
	s_mov_b32 s4, exec_lo
	s_waitcnt lgkmcnt(1)
	v_cmp_lt_f32_e64 s3, v35, v38
	v_cmpx_nlt_f32_e32 v35, v38
	s_cbranch_execz .LBB19_28
; %bb.27:                               ;   in Loop: Header=BB19_14 Depth=1
	v_cmp_eq_f32_e32 vcc_lo, v35, v38
	s_waitcnt lgkmcnt(0)
	v_cmp_lt_i32_e64 s0, v37, v36
	s_and_not1_b32 s3, s3, exec_lo
	s_delay_alu instid0(VALU_DEP_1) | instskip(NEXT) | instid1(SALU_CYCLE_1)
	s_and_b32 s0, vcc_lo, s0
	s_and_b32 s0, s0, exec_lo
	s_delay_alu instid0(SALU_CYCLE_1)
	s_or_b32 s3, s3, s0
.LBB19_28:                              ;   in Loop: Header=BB19_14 Depth=1
	s_or_b32 exec_lo, exec_lo, s4
	s_delay_alu instid0(VALU_DEP_2)
	s_and_saveexec_b32 s0, s3
	s_cbranch_execz .LBB19_30
; %bb.29:                               ;   in Loop: Header=BB19_14 Depth=1
	s_waitcnt lgkmcnt(0)
	v_dual_mov_b32 v35, v38 :: v_dual_mov_b32 v36, v37
.LBB19_30:                              ;   in Loop: Header=BB19_14 Depth=1
	s_or_b32 exec_lo, exec_lo, s0
	s_waitcnt lgkmcnt(0)
	ds_bpermute_b32 v37, v34, v35
	ds_bpermute_b32 v38, v34, v36
	s_mov_b32 s4, exec_lo
	s_waitcnt lgkmcnt(1)
	v_cmp_lt_f32_e64 s3, v35, v37
	v_cmpx_nlt_f32_e32 v35, v37
	s_cbranch_execz .LBB19_32
; %bb.31:                               ;   in Loop: Header=BB19_14 Depth=1
	v_cmp_eq_f32_e32 vcc_lo, v35, v37
	s_waitcnt lgkmcnt(0)
	v_cmp_lt_i32_e64 s0, v38, v36
	s_and_not1_b32 s3, s3, exec_lo
	s_delay_alu instid0(VALU_DEP_1) | instskip(NEXT) | instid1(SALU_CYCLE_1)
	s_and_b32 s0, vcc_lo, s0
	s_and_b32 s0, s0, exec_lo
	s_delay_alu instid0(SALU_CYCLE_1)
	s_or_b32 s3, s3, s0
.LBB19_32:                              ;   in Loop: Header=BB19_14 Depth=1
	s_or_b32 exec_lo, exec_lo, s4
	s_delay_alu instid0(VALU_DEP_2)
	s_and_saveexec_b32 s0, s3
	s_cbranch_execz .LBB19_34
; %bb.33:                               ;   in Loop: Header=BB19_14 Depth=1
	s_waitcnt lgkmcnt(0)
	v_dual_mov_b32 v35, v37 :: v_dual_mov_b32 v36, v38
.LBB19_34:                              ;   in Loop: Header=BB19_14 Depth=1
	s_or_b32 exec_lo, exec_lo, s0
	s_delay_alu instid0(VALU_DEP_1) | instskip(NEXT) | instid1(VALU_DEP_1)
	v_and_b32_e32 v37, 31, v36
	v_cmp_eq_u32_e32 vcc_lo, v37, v28
	s_and_saveexec_b32 s3, vcc_lo
	s_cbranch_execz .LBB19_36
; %bb.35:                               ;   in Loop: Header=BB19_14 Depth=1
	v_ashrrev_i32_e32 v37, 31, v36
	s_delay_alu instid0(VALU_DEP_1) | instskip(NEXT) | instid1(VALU_DEP_1)
	v_lshrrev_b32_e32 v37, 27, v37
	v_add_nc_u32_e32 v37, v36, v37
	s_delay_alu instid0(VALU_DEP_1) | instskip(NEXT) | instid1(VALU_DEP_1)
	v_ashrrev_i32_e32 v37, 5, v37
	v_cmp_ne_u32_e64 s0, 7, v37
	s_delay_alu instid0(VALU_DEP_1) | instskip(SKIP_1) | instid1(VALU_DEP_1)
	v_cndmask_b32_e64 v15, 0xff800000, v15, s0
	v_cmp_ne_u32_e64 s0, 6, v37
	v_cndmask_b32_e64 v14, 0xff800000, v14, s0
	v_cmp_ne_u32_e64 s0, 5, v37
	s_delay_alu instid0(VALU_DEP_1) | instskip(SKIP_1) | instid1(VALU_DEP_1)
	v_cndmask_b32_e64 v13, 0xff800000, v13, s0
	v_cmp_ne_u32_e64 s0, 4, v37
	v_cndmask_b32_e64 v12, 0xff800000, v12, s0
	;; [unrolled: 5-line block ×4, first 2 shown]
.LBB19_36:                              ;   in Loop: Header=BB19_14 Depth=1
	s_or_b32 exec_lo, exec_lo, s3
	s_and_saveexec_b32 s0, vcc_lo
	s_cbranch_execz .LBB19_13
; %bb.37:                               ;   in Loop: Header=BB19_14 Depth=1
	v_add_f32_e32 v37, v32, v35
	global_store_b32 v[17:18], v36, off
	v_cndmask_b32_e64 v32, v32, v37, s1
	s_branch .LBB19_13
.LBB19_38:
	s_and_b32 vcc_lo, exec_lo, s1
	s_cbranch_vccz .LBB19_40
; %bb.39:
	v_xor_b32_e32 v8, 16, v31
	s_waitcnt vmcnt(6)
	v_xor_b32_e32 v9, 8, v31
	s_waitcnt vmcnt(5)
	v_xor_b32_e32 v10, 4, v31
	v_cmp_gt_i32_e32 vcc_lo, 32, v8
	v_cndmask_b32_e32 v8, v31, v8, vcc_lo
	v_cmp_gt_i32_e32 vcc_lo, 32, v9
	v_cndmask_b32_e32 v9, v31, v9, vcc_lo
	v_cmp_gt_i32_e32 vcc_lo, 32, v10
	s_delay_alu instid0(VALU_DEP_2)
	v_lshlrev_b32_e32 v9, 2, v9
	v_lshlrev_b32_e32 v8, 2, v8
	v_cndmask_b32_e32 v10, v31, v10, vcc_lo
	ds_bpermute_b32 v8, v8, v32
	v_lshlrev_b32_e32 v10, 2, v10
	s_waitcnt lgkmcnt(0)
	v_add_f32_e32 v8, v32, v8
	ds_bpermute_b32 v9, v9, v8
	s_waitcnt lgkmcnt(0)
	v_add_f32_e32 v8, v8, v9
	ds_bpermute_b32 v9, v10, v8
	v_xor_b32_e32 v10, 2, v31
	s_delay_alu instid0(VALU_DEP_1) | instskip(SKIP_1) | instid1(VALU_DEP_1)
	v_cmp_gt_i32_e32 vcc_lo, 32, v10
	v_cndmask_b32_e32 v10, v31, v10, vcc_lo
	v_lshlrev_b32_e32 v10, 2, v10
	s_waitcnt lgkmcnt(0)
	v_add_f32_e32 v8, v8, v9
	ds_bpermute_b32 v9, v10, v8
	v_xor_b32_e32 v10, 1, v31
	s_delay_alu instid0(VALU_DEP_1) | instskip(SKIP_1) | instid1(VALU_DEP_1)
	v_cmp_gt_i32_e32 vcc_lo, 32, v10
	v_cndmask_b32_e32 v10, v31, v10, vcc_lo
	v_lshlrev_b32_e32 v10, 2, v10
	s_waitcnt lgkmcnt(0)
	v_add_f32_e32 v8, v8, v9
	ds_bpermute_b32 v9, v10, v8
	v_max_f32_e64 v10, s10, s10
	s_waitcnt lgkmcnt(0)
	v_add_f32_e32 v8, v8, v9
	s_delay_alu instid0(VALU_DEP_1) | instskip(NEXT) | instid1(VALU_DEP_1)
	v_max_f32_e32 v8, v8, v10
	v_div_scale_f32 v9, null, v8, v8, 1.0
	s_waitcnt vmcnt(3)
	v_div_scale_f32 v12, vcc_lo, 1.0, v8, 1.0
	s_delay_alu instid0(VALU_DEP_2) | instskip(SKIP_2) | instid1(VALU_DEP_1)
	v_rcp_f32_e32 v10, v9
	s_waitcnt_depctr 0xfff
	v_fma_f32 v11, -v9, v10, 1.0
	v_fmac_f32_e32 v10, v11, v10
	s_delay_alu instid0(VALU_DEP_1) | instskip(SKIP_1) | instid1(VALU_DEP_1)
	v_mul_f32_e32 v11, v12, v10
	s_waitcnt vmcnt(2)
	v_fma_f32 v13, -v9, v11, v12
	s_delay_alu instid0(VALU_DEP_1) | instskip(NEXT) | instid1(VALU_DEP_1)
	v_fmac_f32_e32 v11, v13, v10
	v_fma_f32 v9, -v9, v11, v12
	s_delay_alu instid0(VALU_DEP_1) | instskip(NEXT) | instid1(VALU_DEP_1)
	v_div_fmas_f32 v9, v9, v10, v11
	v_div_fixup_f32 v8, v9, v8, 1.0
	s_delay_alu instid0(VALU_DEP_1)
	v_mul_f32_e32 v7, v8, v7
	v_mul_f32_e32 v0, v8, v0
	;; [unrolled: 1-line block ×8, first 2 shown]
.LBB19_40:
	v_cmp_gt_i32_e64 s0, s9, v30
	v_cmp_gt_i32_e64 s1, s9, v29
	;; [unrolled: 1-line block ×8, first 2 shown]
	s_and_not1_b32 vcc_lo, exec_lo, s8
	s_cbranch_vccnz .LBB19_42
; %bb.41:
	s_waitcnt vmcnt(6)
	v_dual_max_f32 v8, v0, v0 :: v_dual_max_f32 v9, v1, v1
	s_waitcnt vmcnt(3)
	v_xor_b32_e32 v12, 4, v31
	s_waitcnt vmcnt(2)
	v_xor_b32_e32 v13, 2, v31
	;; [unrolled: 2-line block ×3, first 2 shown]
	v_max_f32_e32 v8, 0xff800000, v8
	v_max_f32_e32 v10, v2, v2
	s_delay_alu instid0(VALU_DEP_2) | instskip(NEXT) | instid1(VALU_DEP_1)
	v_cndmask_b32_e64 v8, 0xff800000, v8, s7
	v_max_f32_e32 v9, v8, v9
	s_delay_alu instid0(VALU_DEP_1) | instskip(NEXT) | instid1(VALU_DEP_1)
	v_cndmask_b32_e64 v8, v8, v9, s0
	v_dual_max_f32 v9, v8, v10 :: v_dual_max_f32 v10, v3, v3
	s_delay_alu instid0(VALU_DEP_1) | instskip(NEXT) | instid1(VALU_DEP_1)
	v_cndmask_b32_e64 v8, v8, v9, s1
	v_max_f32_e32 v9, v8, v10
	v_max_f32_e32 v10, v4, v4
	s_delay_alu instid0(VALU_DEP_2) | instskip(NEXT) | instid1(VALU_DEP_1)
	v_cndmask_b32_e64 v8, v8, v9, s2
	v_max_f32_e32 v9, v8, v10
	s_delay_alu instid0(VALU_DEP_1) | instskip(NEXT) | instid1(VALU_DEP_1)
	v_cndmask_b32_e64 v8, v8, v9, s3
	v_dual_max_f32 v9, v5, v5 :: v_dual_max_f32 v10, v8, v8
	s_delay_alu instid0(VALU_DEP_1) | instskip(NEXT) | instid1(VALU_DEP_1)
	v_max_f32_e32 v9, v10, v9
	v_cndmask_b32_e64 v8, v8, v9, s4
	s_delay_alu instid0(VALU_DEP_1) | instskip(NEXT) | instid1(VALU_DEP_1)
	v_dual_max_f32 v9, v6, v6 :: v_dual_max_f32 v10, v8, v8
	v_dual_max_f32 v9, v10, v9 :: v_dual_max_f32 v10, v7, v7
	s_delay_alu instid0(VALU_DEP_1) | instskip(SKIP_1) | instid1(VALU_DEP_2)
	v_cndmask_b32_e64 v8, v8, v9, s5
	v_xor_b32_e32 v9, 16, v31
	v_max_f32_e32 v11, v8, v8
	s_delay_alu instid0(VALU_DEP_2) | instskip(NEXT) | instid1(VALU_DEP_2)
	v_cmp_gt_i32_e32 vcc_lo, 32, v9
	v_max_f32_e32 v10, v11, v10
	v_cndmask_b32_e32 v9, v31, v9, vcc_lo
	v_xor_b32_e32 v11, 8, v31
	s_delay_alu instid0(VALU_DEP_3) | instskip(NEXT) | instid1(VALU_DEP_3)
	v_cndmask_b32_e64 v8, v8, v10, s6
	v_lshlrev_b32_e32 v9, 2, v9
	s_delay_alu instid0(VALU_DEP_3)
	v_cmp_gt_i32_e32 vcc_lo, 32, v11
	ds_bpermute_b32 v10, v9, v8
	v_max_f32_e32 v8, v8, v8
	s_waitcnt lgkmcnt(0)
	v_dual_max_f32 v10, v10, v10 :: v_dual_cndmask_b32 v11, v31, v11
	v_cmp_gt_i32_e32 vcc_lo, 32, v12
	s_delay_alu instid0(VALU_DEP_2)
	v_dual_max_f32 v8, v8, v10 :: v_dual_lshlrev_b32 v11, 2, v11
	v_cndmask_b32_e32 v12, v31, v12, vcc_lo
	v_cmp_gt_i32_e32 vcc_lo, 32, v13
	ds_bpermute_b32 v10, v11, v8
	v_dual_cndmask_b32 v13, v31, v13 :: v_dual_lshlrev_b32 v12, 2, v12
	v_cmp_gt_i32_e32 vcc_lo, 32, v14
	s_delay_alu instid0(VALU_DEP_2) | instskip(NEXT) | instid1(VALU_DEP_1)
	v_dual_cndmask_b32 v14, v31, v14 :: v_dual_lshlrev_b32 v13, 2, v13
	v_lshlrev_b32_e32 v14, 2, v14
	s_waitcnt lgkmcnt(0)
	v_max_f32_e32 v10, v10, v10
	s_delay_alu instid0(VALU_DEP_1) | instskip(SKIP_3) | instid1(VALU_DEP_1)
	v_max_f32_e32 v8, v8, v10
	ds_bpermute_b32 v10, v12, v8
	s_waitcnt lgkmcnt(0)
	v_max_f32_e32 v10, v10, v10
	v_max_f32_e32 v8, v8, v10
	ds_bpermute_b32 v10, v13, v8
	s_waitcnt lgkmcnt(0)
	v_max_f32_e32 v10, v10, v10
	s_delay_alu instid0(VALU_DEP_1) | instskip(SKIP_3) | instid1(VALU_DEP_1)
	v_max_f32_e32 v8, v8, v10
	ds_bpermute_b32 v10, v14, v8
	s_waitcnt lgkmcnt(0)
	v_max_f32_e32 v10, v10, v10
	v_max_f32_e32 v8, v8, v10
	s_delay_alu instid0(VALU_DEP_1) | instskip(SKIP_1) | instid1(VALU_DEP_1)
	v_sub_f32_e32 v2, v2, v8
	s_waitcnt vmcnt(0)
	v_mul_f32_e32 v15, 0x3fb8aa3b, v2
	s_delay_alu instid0(VALU_DEP_1) | instskip(SKIP_1) | instid1(VALU_DEP_2)
	v_rndne_f32_e32 v36, v15
	v_fma_f32 v35, 0x3fb8aa3b, v2, -v15
	v_sub_f32_e32 v15, v15, v36
	v_sub_f32_e32 v3, v3, v8
	;; [unrolled: 1-line block ×4, first 2 shown]
	s_delay_alu instid0(VALU_DEP_3) | instskip(NEXT) | instid1(VALU_DEP_3)
	v_dual_sub_f32 v7, v7, v8 :: v_dual_mul_f32 v16, 0x3fb8aa3b, v3
	v_mul_f32_e32 v18, 0x3fb8aa3b, v5
	s_delay_alu instid0(VALU_DEP_2) | instskip(NEXT) | instid1(VALU_DEP_2)
	v_fma_f32 v37, 0x3fb8aa3b, v3, -v16
	v_fma_f32 v41, 0x3fb8aa3b, v5, -v18
	v_sub_f32_e32 v6, v6, v8
	v_rndne_f32_e32 v38, v16
	s_delay_alu instid0(VALU_DEP_4) | instskip(NEXT) | instid1(VALU_DEP_4)
	v_fmac_f32_e32 v37, 0x32a5705f, v3
	v_dual_fmac_f32 v41, 0x32a5705f, v5 :: v_dual_sub_f32 v0, v0, v8
	s_delay_alu instid0(VALU_DEP_4) | instskip(SKIP_1) | instid1(VALU_DEP_3)
	v_dual_mul_f32 v25, 0x3fb8aa3b, v6 :: v_dual_sub_f32 v4, v4, v8
	v_fmac_f32_e32 v35, 0x32a5705f, v2
	v_mul_f32_e32 v8, 0x3fb8aa3b, v0
	s_delay_alu instid0(VALU_DEP_3) | instskip(NEXT) | instid1(VALU_DEP_4)
	v_fma_f32 v43, 0x3fb8aa3b, v6, -v25
	v_mul_f32_e32 v17, 0x3fb8aa3b, v4
	s_delay_alu instid0(VALU_DEP_4)
	v_add_f32_e32 v15, v15, v35
	v_cmp_ngt_f32_e32 vcc_lo, 0xc2ce8ed0, v0
	v_fma_f32 v31, 0x3fb8aa3b, v0, -v8
	v_rndne_f32_e32 v32, v8
	v_rndne_f32_e32 v40, v17
	v_mul_f32_e32 v10, 0x3fb8aa3b, v1
	v_fma_f32 v39, 0x3fb8aa3b, v4, -v17
	v_fmac_f32_e32 v31, 0x32a5705f, v0
	v_dual_sub_f32 v8, v8, v32 :: v_dual_fmac_f32 v43, 0x32a5705f, v6
	v_sub_f32_e32 v17, v17, v40
	v_fma_f32 v33, 0x3fb8aa3b, v1, -v10
	v_rndne_f32_e32 v34, v10
	s_delay_alu instid0(VALU_DEP_4) | instskip(SKIP_1) | instid1(VALU_DEP_3)
	v_dual_add_f32 v8, v8, v31 :: v_dual_fmac_f32 v39, 0x32a5705f, v4
	v_cvt_i32_f32_e32 v32, v32
	v_dual_fmac_f32 v33, 0x32a5705f, v1 :: v_dual_sub_f32 v10, v10, v34
	s_delay_alu instid0(VALU_DEP_3)
	v_exp_f32_e32 v8, v8
	v_cvt_i32_f32_e32 v34, v34
	v_exp_f32_e32 v15, v15
	v_cvt_i32_f32_e32 v31, v36
	v_add_f32_e32 v10, v10, v33
	v_cvt_i32_f32_e32 v33, v38
	v_cvt_i32_f32_e32 v36, v40
	v_rndne_f32_e32 v44, v25
	s_delay_alu instid0(VALU_DEP_4) | instskip(NEXT) | instid1(TRANS32_DEP_3)
	v_exp_f32_e32 v10, v10
	v_ldexp_f32 v8, v8, v32
	s_delay_alu instid0(TRANS32_DEP_2) | instskip(NEXT) | instid1(VALU_DEP_2)
	v_ldexp_f32 v15, v15, v31
	v_cndmask_b32_e32 v8, 0, v8, vcc_lo
	v_cmp_ngt_f32_e32 vcc_lo, 0xc2ce8ed0, v1
	s_waitcnt_depctr 0xfff
	v_ldexp_f32 v10, v10, v34
	s_delay_alu instid0(VALU_DEP_1) | instskip(SKIP_3) | instid1(VALU_DEP_2)
	v_cndmask_b32_e32 v10, 0, v10, vcc_lo
	v_cmp_nlt_f32_e32 vcc_lo, 0x42b17218, v0
	v_cndmask_b32_e32 v0, 0x7f800000, v8, vcc_lo
	v_cmp_nlt_f32_e32 vcc_lo, 0x42b17218, v1
	v_cndmask_b32_e64 v0, 0, v0, s7
	v_cndmask_b32_e32 v1, 0x7f800000, v10, vcc_lo
	v_cmp_ngt_f32_e32 vcc_lo, 0xc2ce8ed0, v2
	v_mul_f32_e32 v26, 0x3fb8aa3b, v7
	v_add_f32_e32 v10, v17, v39
	s_delay_alu instid0(VALU_DEP_4)
	v_add_f32_e32 v17, v1, v0
	v_cndmask_b32_e32 v15, 0, v15, vcc_lo
	v_rndne_f32_e32 v42, v18
	v_cmp_nlt_f32_e32 vcc_lo, 0x42b17218, v2
	v_exp_f32_e32 v10, v10
	v_fma_f32 v45, 0x3fb8aa3b, v7, -v26
	v_rndne_f32_e32 v46, v26
	v_sub_f32_e32 v18, v18, v42
	v_sub_f32_e32 v16, v16, v38
	v_cndmask_b32_e32 v2, 0x7f800000, v15, vcc_lo
	v_cndmask_b32_e64 v15, v0, v17, s0
	v_cmp_ngt_f32_e32 vcc_lo, 0xc2ce8ed0, v3
	v_add_f32_e32 v17, v18, v41
	v_add_f32_e32 v16, v16, v37
	v_ldexp_f32 v10, v10, v36
	v_add_f32_e32 v18, v15, v2
	v_cvt_i32_f32_e32 v35, v42
	v_exp_f32_e32 v17, v17
	v_exp_f32_e32 v8, v16
	v_fmac_f32_e32 v45, 0x32a5705f, v7
	v_cndmask_b32_e64 v1, 0, v1, s0
	s_waitcnt_depctr 0xfff
	v_ldexp_f32 v17, v17, v35
	v_ldexp_f32 v8, v8, v33
	s_delay_alu instid0(VALU_DEP_1) | instskip(SKIP_1) | instid1(VALU_DEP_2)
	v_cndmask_b32_e32 v8, 0, v8, vcc_lo
	v_cmp_nlt_f32_e32 vcc_lo, 0x42b17218, v3
	v_cndmask_b32_e32 v3, 0x7f800000, v8, vcc_lo
	v_cndmask_b32_e64 v8, v15, v18, s1
	v_cmp_ngt_f32_e32 vcc_lo, 0xc2ce8ed0, v4
	s_delay_alu instid0(VALU_DEP_2) | instskip(SKIP_3) | instid1(VALU_DEP_4)
	v_add_f32_e32 v18, v8, v3
	v_cndmask_b32_e32 v10, 0, v10, vcc_lo
	v_cmp_nlt_f32_e32 vcc_lo, 0x42b17218, v4
	v_cndmask_b32_e64 v3, 0, v3, s2
	v_cndmask_b32_e64 v8, v8, v18, s2
	s_delay_alu instid0(VALU_DEP_4) | instskip(SKIP_1) | instid1(VALU_DEP_2)
	v_cndmask_b32_e32 v4, 0x7f800000, v10, vcc_lo
	v_cmp_ngt_f32_e32 vcc_lo, 0xc2ce8ed0, v5
	v_dual_add_f32 v18, v8, v4 :: v_dual_cndmask_b32 v17, 0, v17
	v_cmp_nlt_f32_e32 vcc_lo, 0x42b17218, v5
	v_cndmask_b32_e64 v4, 0, v4, s3
	s_delay_alu instid0(VALU_DEP_3) | instskip(NEXT) | instid1(VALU_DEP_4)
	v_cndmask_b32_e64 v8, v8, v18, s3
	v_cndmask_b32_e32 v5, 0x7f800000, v17, vcc_lo
	v_cmp_ngt_f32_e32 vcc_lo, 0xc2ce8ed0, v6
	s_delay_alu instid0(VALU_DEP_2) | instskip(SKIP_1) | instid1(VALU_DEP_2)
	v_add_f32_e32 v17, v8, v5
	v_cndmask_b32_e64 v5, 0, v5, s4
	v_cndmask_b32_e64 v8, v8, v17, s4
	v_sub_f32_e32 v16, v25, v44
	s_delay_alu instid0(VALU_DEP_1) | instskip(NEXT) | instid1(VALU_DEP_1)
	v_dual_add_f32 v15, v16, v43 :: v_dual_sub_f32 v16, v26, v46
	v_exp_f32_e32 v15, v15
	s_delay_alu instid0(VALU_DEP_1) | instskip(SKIP_1) | instid1(VALU_DEP_2)
	v_add_f32_e32 v10, v16, v45
	v_cvt_i32_f32_e32 v16, v44
	v_exp_f32_e32 v10, v10
	s_waitcnt_depctr 0xfff
	v_ldexp_f32 v15, v15, v16
	v_cvt_i32_f32_e32 v16, v46
	s_delay_alu instid0(VALU_DEP_2) | instskip(SKIP_1) | instid1(VALU_DEP_3)
	v_cndmask_b32_e32 v15, 0, v15, vcc_lo
	v_cmp_nlt_f32_e32 vcc_lo, 0x42b17218, v6
	v_ldexp_f32 v10, v10, v16
	s_delay_alu instid0(VALU_DEP_3) | instskip(SKIP_1) | instid1(VALU_DEP_2)
	v_cndmask_b32_e32 v6, 0x7f800000, v15, vcc_lo
	v_cmp_ngt_f32_e32 vcc_lo, 0xc2ce8ed0, v7
	v_add_f32_e32 v15, v8, v6
	s_delay_alu instid0(VALU_DEP_4) | instskip(SKIP_2) | instid1(VALU_DEP_4)
	v_cndmask_b32_e32 v10, 0, v10, vcc_lo
	v_cmp_nlt_f32_e32 vcc_lo, 0x42b17218, v7
	v_cndmask_b32_e64 v6, 0, v6, s5
	v_cndmask_b32_e64 v8, v8, v15, s5
	s_delay_alu instid0(VALU_DEP_4) | instskip(NEXT) | instid1(VALU_DEP_1)
	v_cndmask_b32_e32 v7, 0x7f800000, v10, vcc_lo
	v_add_f32_e32 v10, v8, v7
	v_cndmask_b32_e64 v7, 0, v7, s6
	s_delay_alu instid0(VALU_DEP_2)
	v_cndmask_b32_e64 v8, v8, v10, s6
	ds_bpermute_b32 v9, v9, v8
	s_waitcnt lgkmcnt(0)
	v_add_f32_e32 v8, v8, v9
	ds_bpermute_b32 v9, v11, v8
	s_waitcnt lgkmcnt(0)
	v_add_f32_e32 v8, v8, v9
	;; [unrolled: 3-line block ×5, first 2 shown]
	s_delay_alu instid0(VALU_DEP_1) | instskip(SKIP_1) | instid1(VALU_DEP_2)
	v_div_scale_f32 v9, null, v8, v8, 1.0
	v_div_scale_f32 v12, vcc_lo, 1.0, v8, 1.0
	v_rcp_f32_e32 v10, v9
	s_waitcnt_depctr 0xfff
	v_fma_f32 v11, -v9, v10, 1.0
	s_delay_alu instid0(VALU_DEP_1) | instskip(NEXT) | instid1(VALU_DEP_1)
	v_fmac_f32_e32 v10, v11, v10
	v_mul_f32_e32 v11, v12, v10
	v_cndmask_b32_e64 v2, 0, v2, s1
	s_delay_alu instid0(VALU_DEP_2) | instskip(NEXT) | instid1(VALU_DEP_1)
	v_fma_f32 v13, -v9, v11, v12
	v_fmac_f32_e32 v11, v13, v10
	s_delay_alu instid0(VALU_DEP_1) | instskip(NEXT) | instid1(VALU_DEP_1)
	v_fma_f32 v9, -v9, v11, v12
	v_div_fmas_f32 v9, v9, v10, v11
	s_delay_alu instid0(VALU_DEP_1) | instskip(NEXT) | instid1(VALU_DEP_1)
	v_div_fixup_f32 v8, v9, v8, 1.0
	v_mul_f32_e32 v13, v4, v8
	v_mul_f32_e32 v9, v0, v8
	;; [unrolled: 1-line block ×8, first 2 shown]
	v_cndmask_b32_e64 v0, v0, v9, s7
	v_cndmask_b32_e64 v1, v1, v10, s0
	;; [unrolled: 1-line block ×8, first 2 shown]
.LBB19_42:
	v_mul_lo_u32 v8, v24, s9
	s_mov_b32 s0, exec_lo
	s_waitcnt vmcnt(6)
	s_delay_alu instid0(VALU_DEP_1) | instskip(NEXT) | instid1(VALU_DEP_1)
	v_ashrrev_i32_e32 v9, 31, v8
	v_lshlrev_b64 v[8:9], 2, v[8:9]
	s_delay_alu instid0(VALU_DEP_1) | instskip(NEXT) | instid1(VALU_DEP_2)
	v_add_co_u32 v8, vcc_lo, s14, v8
	v_add_co_ci_u32_e32 v9, vcc_lo, s15, v9, vcc_lo
	v_cmpx_gt_i32_e64 s9, v28
	s_cbranch_execnz .LBB19_52
; %bb.43:
	s_or_b32 exec_lo, exec_lo, s0
	s_delay_alu instid0(SALU_CYCLE_1)
	s_mov_b32 s0, exec_lo
	v_cmpx_gt_i32_e64 s9, v30
	s_cbranch_execnz .LBB19_53
.LBB19_44:
	s_or_b32 exec_lo, exec_lo, s0
	s_delay_alu instid0(SALU_CYCLE_1)
	s_mov_b32 s0, exec_lo
	v_cmpx_gt_i32_e64 s9, v29
	s_cbranch_execnz .LBB19_54
.LBB19_45:
	s_or_b32 exec_lo, exec_lo, s0
	s_delay_alu instid0(SALU_CYCLE_1)
	s_mov_b32 s0, exec_lo
	v_cmpx_gt_i32_e64 s9, v23
	s_cbranch_execnz .LBB19_55
.LBB19_46:
	s_or_b32 exec_lo, exec_lo, s0
	s_delay_alu instid0(SALU_CYCLE_1)
	s_mov_b32 s0, exec_lo
	v_cmpx_gt_i32_e64 s9, v22
	s_cbranch_execnz .LBB19_56
.LBB19_47:
	s_or_b32 exec_lo, exec_lo, s0
	s_delay_alu instid0(SALU_CYCLE_1)
	s_mov_b32 s0, exec_lo
	v_cmpx_gt_i32_e64 s9, v21
	s_cbranch_execnz .LBB19_57
.LBB19_48:
	s_or_b32 exec_lo, exec_lo, s0
	s_delay_alu instid0(SALU_CYCLE_1)
	s_mov_b32 s0, exec_lo
	v_cmpx_gt_i32_e64 s9, v20
	s_cbranch_execnz .LBB19_58
.LBB19_49:
	s_or_b32 exec_lo, exec_lo, s0
	v_cmp_gt_i32_e32 vcc_lo, s9, v19
	s_and_b32 exec_lo, exec_lo, vcc_lo
	s_cbranch_execz .LBB19_51
.LBB19_50:
	v_add_co_u32 v0, vcc_lo, v8, v27
	v_add_co_ci_u32_e32 v1, vcc_lo, 0, v9, vcc_lo
	v_mul_f32_e32 v2, s11, v7
	global_store_b32 v[0:1], v2, off offset:896
.LBB19_51:
	s_nop 0
	s_sendmsg sendmsg(MSG_DEALLOC_VGPRS)
	s_endpgm
.LBB19_52:
	s_waitcnt vmcnt(5)
	v_add_co_u32 v10, vcc_lo, v8, v27
	s_waitcnt vmcnt(4)
	v_add_co_ci_u32_e32 v11, vcc_lo, 0, v9, vcc_lo
	v_mul_f32_e32 v0, s11, v0
	global_store_b32 v[10:11], v0, off
	s_or_b32 exec_lo, exec_lo, s0
	s_delay_alu instid0(SALU_CYCLE_1)
	s_mov_b32 s0, exec_lo
	v_cmpx_gt_i32_e64 s9, v30
	s_cbranch_execz .LBB19_44
.LBB19_53:
	s_waitcnt vmcnt(5)
	v_add_co_u32 v10, vcc_lo, v8, v27
	s_waitcnt vmcnt(4)
	v_add_co_ci_u32_e32 v11, vcc_lo, 0, v9, vcc_lo
	v_mul_f32_e32 v0, s11, v1
	global_store_b32 v[10:11], v0, off offset:128
	s_or_b32 exec_lo, exec_lo, s0
	s_delay_alu instid0(SALU_CYCLE_1)
	s_mov_b32 s0, exec_lo
	v_cmpx_gt_i32_e64 s9, v29
	s_cbranch_execz .LBB19_45
.LBB19_54:
	v_add_co_u32 v0, vcc_lo, v8, v27
	v_add_co_ci_u32_e32 v1, vcc_lo, 0, v9, vcc_lo
	v_mul_f32_e32 v2, s11, v2
	global_store_b32 v[0:1], v2, off offset:256
	s_or_b32 exec_lo, exec_lo, s0
	s_delay_alu instid0(SALU_CYCLE_1)
	s_mov_b32 s0, exec_lo
	v_cmpx_gt_i32_e64 s9, v23
	s_cbranch_execz .LBB19_46
.LBB19_55:
	v_add_co_u32 v0, vcc_lo, v8, v27
	v_add_co_ci_u32_e32 v1, vcc_lo, 0, v9, vcc_lo
	v_mul_f32_e32 v2, s11, v3
	global_store_b32 v[0:1], v2, off offset:384
	s_or_b32 exec_lo, exec_lo, s0
	s_delay_alu instid0(SALU_CYCLE_1)
	s_mov_b32 s0, exec_lo
	v_cmpx_gt_i32_e64 s9, v22
	s_cbranch_execz .LBB19_47
.LBB19_56:
	v_add_co_u32 v0, vcc_lo, v8, v27
	v_add_co_ci_u32_e32 v1, vcc_lo, 0, v9, vcc_lo
	v_mul_f32_e32 v2, s11, v4
	global_store_b32 v[0:1], v2, off offset:512
	s_or_b32 exec_lo, exec_lo, s0
	s_delay_alu instid0(SALU_CYCLE_1)
	s_mov_b32 s0, exec_lo
	v_cmpx_gt_i32_e64 s9, v21
	s_cbranch_execz .LBB19_48
.LBB19_57:
	v_add_co_u32 v0, vcc_lo, v8, v27
	v_add_co_ci_u32_e32 v1, vcc_lo, 0, v9, vcc_lo
	v_mul_f32_e32 v2, s11, v5
	global_store_b32 v[0:1], v2, off offset:640
	s_or_b32 exec_lo, exec_lo, s0
	s_delay_alu instid0(SALU_CYCLE_1)
	s_mov_b32 s0, exec_lo
	v_cmpx_gt_i32_e64 s9, v20
	s_cbranch_execz .LBB19_49
.LBB19_58:
	v_add_co_u32 v0, vcc_lo, v8, v27
	v_add_co_ci_u32_e32 v1, vcc_lo, 0, v9, vcc_lo
	v_mul_f32_e32 v2, s11, v6
	global_store_b32 v[0:1], v2, off offset:768
	s_or_b32 exec_lo, exec_lo, s0
	v_cmp_gt_i32_e32 vcc_lo, s9, v19
	s_and_b32 exec_lo, exec_lo, vcc_lo
	s_cbranch_execnz .LBB19_50
	s_branch .LBB19_51
	.section	.rodata,"a",@progbits
	.p2align	6, 0x0
	.amdhsa_kernel _Z13topk_moe_cudaILi256ELb0EEvPKfPfPiS2_iiff15topk_moe_config
		.amdhsa_group_segment_fixed_size 0
		.amdhsa_private_segment_fixed_size 0
		.amdhsa_kernarg_size 312
		.amdhsa_user_sgpr_count 15
		.amdhsa_user_sgpr_dispatch_ptr 0
		.amdhsa_user_sgpr_queue_ptr 0
		.amdhsa_user_sgpr_kernarg_segment_ptr 1
		.amdhsa_user_sgpr_dispatch_id 0
		.amdhsa_user_sgpr_private_segment_size 0
		.amdhsa_wavefront_size32 1
		.amdhsa_uses_dynamic_stack 0
		.amdhsa_enable_private_segment 0
		.amdhsa_system_sgpr_workgroup_id_x 1
		.amdhsa_system_sgpr_workgroup_id_y 0
		.amdhsa_system_sgpr_workgroup_id_z 0
		.amdhsa_system_sgpr_workgroup_info 0
		.amdhsa_system_vgpr_workitem_id 1
		.amdhsa_next_free_vgpr 51
		.amdhsa_next_free_sgpr 16
		.amdhsa_reserve_vcc 1
		.amdhsa_float_round_mode_32 0
		.amdhsa_float_round_mode_16_64 0
		.amdhsa_float_denorm_mode_32 3
		.amdhsa_float_denorm_mode_16_64 3
		.amdhsa_dx10_clamp 1
		.amdhsa_ieee_mode 1
		.amdhsa_fp16_overflow 0
		.amdhsa_workgroup_processor_mode 1
		.amdhsa_memory_ordered 1
		.amdhsa_forward_progress 0
		.amdhsa_shared_vgpr_count 0
		.amdhsa_exception_fp_ieee_invalid_op 0
		.amdhsa_exception_fp_denorm_src 0
		.amdhsa_exception_fp_ieee_div_zero 0
		.amdhsa_exception_fp_ieee_overflow 0
		.amdhsa_exception_fp_ieee_underflow 0
		.amdhsa_exception_fp_ieee_inexact 0
		.amdhsa_exception_int_div_zero 0
	.end_amdhsa_kernel
	.section	.text._Z13topk_moe_cudaILi256ELb0EEvPKfPfPiS2_iiff15topk_moe_config,"axG",@progbits,_Z13topk_moe_cudaILi256ELb0EEvPKfPfPiS2_iiff15topk_moe_config,comdat
.Lfunc_end19:
	.size	_Z13topk_moe_cudaILi256ELb0EEvPKfPfPiS2_iiff15topk_moe_config, .Lfunc_end19-_Z13topk_moe_cudaILi256ELb0EEvPKfPfPiS2_iiff15topk_moe_config
                                        ; -- End function
	.section	.AMDGPU.csdata,"",@progbits
; Kernel info:
; codeLenInByte = 7336
; NumSgprs: 18
; NumVgprs: 51
; ScratchSize: 0
; MemoryBound: 0
; FloatMode: 240
; IeeeMode: 1
; LDSByteSize: 0 bytes/workgroup (compile time only)
; SGPRBlocks: 2
; VGPRBlocks: 6
; NumSGPRsForWavesPerEU: 18
; NumVGPRsForWavesPerEU: 51
; Occupancy: 16
; WaveLimiterHint : 1
; COMPUTE_PGM_RSRC2:SCRATCH_EN: 0
; COMPUTE_PGM_RSRC2:USER_SGPR: 15
; COMPUTE_PGM_RSRC2:TRAP_HANDLER: 0
; COMPUTE_PGM_RSRC2:TGID_X_EN: 1
; COMPUTE_PGM_RSRC2:TGID_Y_EN: 0
; COMPUTE_PGM_RSRC2:TGID_Z_EN: 0
; COMPUTE_PGM_RSRC2:TIDIG_COMP_CNT: 1
	.section	.text._Z13topk_moe_cudaILi512ELb0EEvPKfPfPiS2_iiff15topk_moe_config,"axG",@progbits,_Z13topk_moe_cudaILi512ELb0EEvPKfPfPiS2_iiff15topk_moe_config,comdat
	.protected	_Z13topk_moe_cudaILi512ELb0EEvPKfPfPiS2_iiff15topk_moe_config ; -- Begin function _Z13topk_moe_cudaILi512ELb0EEvPKfPfPiS2_iiff15topk_moe_config
	.globl	_Z13topk_moe_cudaILi512ELb0EEvPKfPfPiS2_iiff15topk_moe_config
	.p2align	8
	.type	_Z13topk_moe_cudaILi512ELb0EEvPKfPfPiS2_iiff15topk_moe_config,@function
_Z13topk_moe_cudaILi512ELb0EEvPKfPfPiS2_iiff15topk_moe_config: ; @_Z13topk_moe_cudaILi512ELb0EEvPKfPfPiS2_iiff15topk_moe_config
; %bb.0:
	s_clause 0x1
	s_load_b32 s2, s[0:1], 0x44
	s_load_b128 s[16:19], s[0:1], 0x20
	v_bfe_u32 v1, v0, 10, 10
	s_waitcnt lgkmcnt(0)
	s_lshr_b32 s2, s2, 16
	s_delay_alu instid0(VALU_DEP_1) | instid1(SALU_CYCLE_1)
	v_mad_u64_u32 v[32:33], null, s15, s2, v[1:2]
	s_mov_b32 s2, exec_lo
	s_delay_alu instid0(VALU_DEP_1)
	v_cmpx_gt_i32_e64 s16, v32
	s_cbranch_execz .LBB20_58
; %bb.1:
	s_clause 0x1
	s_load_b128 s[20:23], s[0:1], 0x0
	s_load_b64 s[24:25], s[0:1], 0x10
	v_lshlrev_b32_e32 v1, 9, v32
	v_dual_mov_b32 v3, 0 :: v_dual_and_b32 v36, 0x3ff, v0
	s_delay_alu instid0(VALU_DEP_2) | instskip(NEXT) | instid1(VALU_DEP_2)
	v_ashrrev_i32_e32 v2, 31, v1
	v_lshlrev_b32_e32 v35, 2, v36
	s_delay_alu instid0(VALU_DEP_2) | instskip(SKIP_1) | instid1(VALU_DEP_1)
	v_lshlrev_b64 v[16:17], 2, v[1:2]
	s_waitcnt lgkmcnt(0)
	v_add_co_u32 v0, vcc_lo, s20, v16
	s_delay_alu instid0(VALU_DEP_2) | instskip(NEXT) | instid1(VALU_DEP_2)
	v_add_co_ci_u32_e32 v2, vcc_lo, s21, v17, vcc_lo
	v_add_co_u32 v1, vcc_lo, v0, v35
	s_delay_alu instid0(VALU_DEP_2)
	v_add_co_ci_u32_e32 v2, vcc_lo, 0, v2, vcc_lo
	global_load_u16 v0, v3, s[0:1] offset:48
	s_clause 0xf
	global_load_b32 v53, v[1:2], off
	global_load_b32 v52, v[1:2], off offset:128
	global_load_b32 v31, v[1:2], off offset:256
	;; [unrolled: 1-line block ×15, first 2 shown]
	s_load_b32 s0, s[0:1], 0x30
	s_waitcnt lgkmcnt(0)
	s_bitcmp1_b32 s0, 16
	s_cselect_b32 s16, -1, 0
	s_delay_alu instid0(SALU_CYCLE_1)
	s_and_b32 vcc_lo, exec_lo, s16
	s_cbranch_vccnz .LBB20_7
; %bb.2:
	s_waitcnt vmcnt(16)
	v_and_b32_e32 v1, 1, v0
	s_delay_alu instid0(VALU_DEP_1)
	v_cmp_eq_u32_e32 vcc_lo, 0, v1
	s_cbranch_vccz .LBB20_4
; %bb.3:
	s_waitcnt vmcnt(14)
	v_max3_f32 v1, v53, 0xff800000, v52
	v_mbcnt_lo_u32_b32 v2, -1, 0
	s_waitcnt vmcnt(12)
	s_delay_alu instid0(VALU_DEP_2) | instskip(NEXT) | instid1(VALU_DEP_2)
	v_max3_f32 v1, v1, v31, v30
	v_xor_b32_e32 v3, 16, v2
	v_xor_b32_e32 v5, 8, v2
	;; [unrolled: 1-line block ×4, first 2 shown]
	s_waitcnt vmcnt(10)
	v_max3_f32 v1, v1, v29, v28
	v_cmp_gt_i32_e32 vcc_lo, 32, v3
	v_xor_b32_e32 v8, 1, v2
	s_waitcnt vmcnt(8)
	s_delay_alu instid0(VALU_DEP_3) | instskip(SKIP_3) | instid1(VALU_DEP_3)
	v_max3_f32 v1, v1, v27, v26
	v_cndmask_b32_e32 v3, v2, v3, vcc_lo
	v_cmp_gt_i32_e32 vcc_lo, 32, v5
	s_waitcnt vmcnt(6)
	v_max3_f32 v1, v1, v25, v24
	v_cndmask_b32_e32 v5, v2, v5, vcc_lo
	v_cmp_gt_i32_e32 vcc_lo, 32, v6
	v_lshlrev_b32_e32 v3, 2, v3
	s_waitcnt vmcnt(4)
	v_max3_f32 v1, v1, v23, v22
	v_dual_cndmask_b32 v6, v2, v6 :: v_dual_lshlrev_b32 v5, 2, v5
	v_cmp_gt_i32_e32 vcc_lo, 32, v7
	s_waitcnt vmcnt(2)
	s_delay_alu instid0(VALU_DEP_3) | instskip(NEXT) | instid1(VALU_DEP_3)
	v_max3_f32 v1, v1, v21, v20
	v_dual_cndmask_b32 v7, v2, v7 :: v_dual_lshlrev_b32 v6, 2, v6
	s_waitcnt vmcnt(0)
	s_delay_alu instid0(VALU_DEP_2) | instskip(SKIP_1) | instid1(VALU_DEP_3)
	v_max3_f32 v1, v1, v19, v18
	v_cmp_gt_i32_e32 vcc_lo, 32, v8
	v_lshlrev_b32_e32 v7, 2, v7
	ds_bpermute_b32 v4, v3, v1
	v_cndmask_b32_e32 v2, v2, v8, vcc_lo
	s_delay_alu instid0(VALU_DEP_1) | instskip(SKIP_2) | instid1(VALU_DEP_1)
	v_lshlrev_b32_e32 v2, 2, v2
	s_waitcnt lgkmcnt(0)
	v_max_f32_e32 v4, v4, v4
	v_max_f32_e32 v1, v1, v4
	ds_bpermute_b32 v4, v5, v1
	s_waitcnt lgkmcnt(0)
	v_max_f32_e32 v4, v4, v4
	s_delay_alu instid0(VALU_DEP_1) | instskip(SKIP_3) | instid1(VALU_DEP_1)
	v_max_f32_e32 v1, v1, v4
	ds_bpermute_b32 v4, v6, v1
	s_waitcnt lgkmcnt(0)
	v_max_f32_e32 v4, v4, v4
	v_max_f32_e32 v1, v1, v4
	ds_bpermute_b32 v4, v7, v1
	s_waitcnt lgkmcnt(0)
	v_max_f32_e32 v4, v4, v4
	s_delay_alu instid0(VALU_DEP_1) | instskip(SKIP_3) | instid1(VALU_DEP_1)
	v_max_f32_e32 v1, v1, v4
	ds_bpermute_b32 v4, v2, v1
	s_waitcnt lgkmcnt(0)
	v_max_f32_e32 v4, v4, v4
	v_max_f32_e32 v1, v1, v4
	s_delay_alu instid0(VALU_DEP_1) | instskip(NEXT) | instid1(VALU_DEP_1)
	v_sub_f32_e32 v33, v24, v1
	v_mul_f32_e32 v50, 0x3fb8aa3b, v33
	v_sub_f32_e32 v11, v29, v1
	v_sub_f32_e32 v4, v53, v1
	;; [unrolled: 1-line block ×3, first 2 shown]
	s_delay_alu instid0(VALU_DEP_4) | instskip(NEXT) | instid1(VALU_DEP_4)
	v_rndne_f32_e32 v78, v50
	v_dual_mul_f32 v45, 0x3fb8aa3b, v11 :: v_dual_sub_f32 v8, v52, v1
	s_delay_alu instid0(VALU_DEP_4) | instskip(NEXT) | instid1(VALU_DEP_4)
	v_mul_f32_e32 v41, 0x3fb8aa3b, v4
	v_mul_f32_e32 v43, 0x3fb8aa3b, v9
	v_cmp_ngt_f32_e32 vcc_lo, 0xc2ce8ed0, v4
	s_delay_alu instid0(VALU_DEP_4)
	v_rndne_f32_e32 v68, v45
	v_mul_f32_e32 v42, 0x3fb8aa3b, v8
	v_rndne_f32_e32 v60, v41
	v_sub_f32_e32 v40, v19, v1
	v_fma_f32 v59, 0x3fb8aa3b, v4, -v41
	v_sub_f32_e32 v38, v21, v1
	v_fma_f32 v61, 0x3fb8aa3b, v8, -v42
	v_dual_sub_f32 v41, v41, v60 :: v_dual_sub_f32 v34, v23, v1
	v_dual_mul_f32 v57, 0x3fb8aa3b, v40 :: v_dual_sub_f32 v12, v28, v1
	v_dual_fmac_f32 v59, 0x32a5705f, v4 :: v_dual_sub_f32 v14, v26, v1
	v_mul_f32_e32 v55, 0x3fb8aa3b, v38
	s_delay_alu instid0(VALU_DEP_4) | instskip(NEXT) | instid1(VALU_DEP_4)
	v_mul_f32_e32 v51, 0x3fb8aa3b, v34
	v_dual_sub_f32 v13, v27, v1 :: v_dual_mul_f32 v46, 0x3fb8aa3b, v12
	s_delay_alu instid0(VALU_DEP_4)
	v_mul_f32_e32 v48, 0x3fb8aa3b, v14
	v_rndne_f32_e32 v62, v42
	v_add_f32_e32 v41, v41, v59
	v_fma_f32 v67, 0x3fb8aa3b, v11, -v45
	v_rndne_f32_e32 v70, v46
	v_sub_f32_e32 v39, v20, v1
	v_fma_f32 v69, 0x3fb8aa3b, v12, -v46
	v_rndne_f32_e32 v74, v48
	v_fma_f32 v73, 0x3fb8aa3b, v14, -v48
	v_dual_sub_f32 v46, v46, v70 :: v_dual_sub_f32 v15, v25, v1
	v_mul_f32_e32 v56, 0x3fb8aa3b, v39
	v_sub_f32_e32 v10, v30, v1
	v_sub_f32_e32 v42, v42, v62
	v_fma_f32 v77, 0x3fb8aa3b, v33, -v50
	v_mul_f32_e32 v49, 0x3fb8aa3b, v15
	v_rndne_f32_e32 v86, v56
	v_mul_f32_e32 v44, 0x3fb8aa3b, v10
	v_dual_fmac_f32 v61, 0x32a5705f, v8 :: v_dual_sub_f32 v48, v48, v74
	v_sub_f32_e32 v50, v50, v78
	v_fma_f32 v63, 0x3fb8aa3b, v9, -v43
	s_delay_alu instid0(VALU_DEP_4)
	v_rndne_f32_e32 v66, v44
	v_sub_f32_e32 v37, v22, v1
	v_sub_f32_e32 v1, v18, v1
	v_rndne_f32_e32 v64, v43
	v_fma_f32 v65, 0x3fb8aa3b, v10, -v44
	v_fma_f32 v85, 0x3fb8aa3b, v39, -v56
	v_sub_f32_e32 v44, v44, v66
	v_dual_mul_f32 v58, 0x3fb8aa3b, v1 :: v_dual_sub_f32 v45, v45, v68
	v_dual_mul_f32 v54, 0x3fb8aa3b, v37 :: v_dual_sub_f32 v43, v43, v64
	v_sub_f32_e32 v56, v56, v86
	s_delay_alu instid0(VALU_DEP_3)
	v_rndne_f32_e32 v90, v58
	v_fmac_f32_e32 v63, 0x32a5705f, v9
	v_dual_fmac_f32 v65, 0x32a5705f, v10 :: v_dual_add_f32 v42, v42, v61
	v_exp_f32_e32 v41, v41
	v_fma_f32 v89, 0x3fb8aa3b, v1, -v58
	v_cvt_i32_f32_e32 v60, v60
	v_dual_sub_f32 v58, v58, v90 :: v_dual_add_f32 v43, v43, v63
	v_exp_f32_e32 v42, v42
	v_rndne_f32_e32 v82, v54
	v_mul_f32_e32 v47, 0x3fb8aa3b, v13
	v_cvt_i32_f32_e32 v62, v62
	v_exp_f32_e32 v43, v43
	s_delay_alu instid0(TRANS32_DEP_3)
	v_ldexp_f32 v41, v41, v60
	v_fma_f32 v81, 0x3fb8aa3b, v37, -v54
	v_sub_f32_e32 v54, v54, v82
	v_fma_f32 v71, 0x3fb8aa3b, v13, -v47
	v_cvt_i32_f32_e32 v64, v64
	v_ldexp_f32 v42, v42, v62
	v_cndmask_b32_e32 v41, 0, v41, vcc_lo
	v_cmp_ngt_f32_e32 vcc_lo, 0xc2ce8ed0, v8
	v_fmac_f32_e32 v71, 0x32a5705f, v13
	v_ldexp_f32 v43, v43, v64
	v_rndne_f32_e32 v80, v51
	v_fma_f32 v79, 0x3fb8aa3b, v34, -v51
	v_cndmask_b32_e32 v42, 0, v42, vcc_lo
	v_cmp_ngt_f32_e32 vcc_lo, 0xc2ce8ed0, v9
	v_rndne_f32_e32 v84, v55
	v_fma_f32 v83, 0x3fb8aa3b, v38, -v55
	v_cvt_i32_f32_e32 v78, v78
	v_rndne_f32_e32 v76, v49
	v_cndmask_b32_e32 v43, 0, v43, vcc_lo
	v_cmp_nlt_f32_e32 vcc_lo, 0x42b17218, v4
	v_sub_f32_e32 v51, v51, v80
	v_fma_f32 v75, 0x3fb8aa3b, v15, -v49
	v_cvt_i32_f32_e32 v86, v86
	v_dual_fmac_f32 v67, 0x32a5705f, v11 :: v_dual_add_f32 v44, v44, v65
	v_cndmask_b32_e32 v4, 0x7f800000, v41, vcc_lo
	v_cmp_nlt_f32_e32 vcc_lo, 0x42b17218, v8
	v_sub_f32_e32 v55, v55, v84
	v_cvt_i32_f32_e32 v90, v90
	v_exp_f32_e32 v44, v44
	v_cvt_i32_f32_e32 v66, v66
	v_cndmask_b32_e32 v8, 0x7f800000, v42, vcc_lo
	v_fmac_f32_e32 v77, 0x32a5705f, v33
	v_rndne_f32_e32 v72, v47
	v_cmp_ngt_f32_e32 vcc_lo, 0xc2ce8ed0, v10
	v_cvt_i32_f32_e32 v68, v68
	v_dual_add_f32 v42, v4, v8 :: v_dual_fmac_f32 v73, 0x32a5705f, v14
	v_dual_add_f32 v50, v50, v77 :: v_dual_fmac_f32 v69, 0x32a5705f, v12
	s_delay_alu instid0(TRANS32_DEP_1) | instskip(SKIP_1) | instid1(VALU_DEP_4)
	v_ldexp_f32 v44, v44, v66
	v_rndne_f32_e32 v88, v57
	v_add_f32_e32 v48, v48, v73
	s_delay_alu instid0(VALU_DEP_4) | instskip(SKIP_4) | instid1(VALU_DEP_4)
	v_exp_f32_e32 v50, v50
	v_dual_sub_f32 v47, v47, v72 :: v_dual_add_f32 v46, v46, v69
	v_cndmask_b32_e32 v41, 0, v44, vcc_lo
	v_cmp_nlt_f32_e32 vcc_lo, 0x42b17218, v9
	v_cvt_i32_f32_e32 v70, v70
	v_add_f32_e32 v47, v47, v71
	v_exp_f32_e32 v46, v46
	v_fma_f32 v87, 0x3fb8aa3b, v40, -v57
	v_cndmask_b32_e32 v9, 0x7f800000, v43, vcc_lo
	s_delay_alu instid0(TRANS32_DEP_2)
	v_ldexp_f32 v50, v50, v78
	v_fmac_f32_e32 v85, 0x32a5705f, v39
	v_sub_f32_e32 v49, v49, v76
	v_cmp_ngt_f32_e32 vcc_lo, 0xc2ce8ed0, v11
	v_exp_f32_e32 v47, v47
	v_cvt_i32_f32_e32 v72, v72
	v_add_f32_e32 v56, v56, v85
	v_ldexp_f32 v46, v46, v70
	v_exp_f32_e32 v48, v48
	v_cvt_i32_f32_e32 v74, v74
	v_cvt_i32_f32_e32 v76, v76
	v_exp_f32_e32 v56, v56
	v_cvt_i32_f32_e32 v80, v80
	v_cvt_i32_f32_e32 v82, v82
	v_ldexp_f32 v47, v47, v72
	v_cvt_i32_f32_e32 v84, v84
	s_delay_alu instid0(TRANS32_DEP_2) | instskip(SKIP_3) | instid1(VALU_DEP_1)
	v_ldexp_f32 v48, v48, v74
	s_waitcnt_depctr 0xfff
	v_ldexp_f32 v56, v56, v86
	v_fmac_f32_e32 v89, 0x32a5705f, v1
	v_dual_fmac_f32 v79, 0x32a5705f, v34 :: v_dual_add_f32 v58, v58, v89
	s_delay_alu instid0(VALU_DEP_1) | instskip(SKIP_3) | instid1(VALU_DEP_1)
	v_exp_f32_e32 v58, v58
	s_waitcnt_depctr 0xfff
	v_ldexp_f32 v58, v58, v90
	v_add_f32_e32 v45, v45, v67
	v_exp_f32_e32 v45, v45
	s_waitcnt_depctr 0xfff
	v_ldexp_f32 v45, v45, v68
	s_delay_alu instid0(VALU_DEP_1)
	v_cndmask_b32_e32 v43, 0, v45, vcc_lo
	v_cmp_nlt_f32_e32 vcc_lo, 0x42b17218, v10
	v_sub_f32_e32 v57, v57, v88
	v_cvt_i32_f32_e32 v88, v88
	v_cndmask_b32_e32 v10, 0x7f800000, v41, vcc_lo
	v_cmp_ngt_f32_e32 vcc_lo, 0xc2ce8ed0, v12
	v_fmac_f32_e32 v81, 0x32a5705f, v37
	v_add_f32_e32 v41, v9, v42
	v_cndmask_b32_e32 v42, 0, v46, vcc_lo
	v_cmp_nlt_f32_e32 vcc_lo, 0x42b17218, v11
	s_delay_alu instid0(VALU_DEP_4) | instskip(SKIP_2) | instid1(VALU_DEP_3)
	v_dual_fmac_f32 v75, 0x32a5705f, v15 :: v_dual_add_f32 v54, v54, v81
	v_cndmask_b32_e32 v11, 0x7f800000, v43, vcc_lo
	v_cmp_ngt_f32_e32 vcc_lo, 0xc2ce8ed0, v13
	v_add_f32_e32 v49, v49, v75
	s_delay_alu instid0(VALU_DEP_4) | instskip(SKIP_2) | instid1(VALU_DEP_3)
	v_exp_f32_e32 v54, v54
	v_cndmask_b32_e32 v43, 0, v47, vcc_lo
	v_cmp_nlt_f32_e32 vcc_lo, 0x42b17218, v12
	v_exp_f32_e32 v49, v49
	v_cndmask_b32_e32 v12, 0x7f800000, v42, vcc_lo
	v_cmp_ngt_f32_e32 vcc_lo, 0xc2ce8ed0, v14
	v_fmac_f32_e32 v83, 0x32a5705f, v38
	v_add_f32_e32 v51, v51, v79
	s_delay_alu instid0(TRANS32_DEP_2) | instskip(SKIP_2) | instid1(TRANS32_DEP_1)
	v_ldexp_f32 v54, v54, v82
	v_cndmask_b32_e32 v42, 0, v48, vcc_lo
	v_cmp_nlt_f32_e32 vcc_lo, 0x42b17218, v13
	v_ldexp_f32 v49, v49, v76
	v_exp_f32_e32 v51, v51
	v_cndmask_b32_e32 v13, 0x7f800000, v43, vcc_lo
	v_cmp_ngt_f32_e32 vcc_lo, 0xc2ce8ed0, v15
	s_delay_alu instid0(VALU_DEP_3)
	v_cndmask_b32_e32 v43, 0, v49, vcc_lo
	v_cmp_nlt_f32_e32 vcc_lo, 0x42b17218, v14
	s_waitcnt_depctr 0xfff
	v_ldexp_f32 v51, v51, v80
	v_cndmask_b32_e32 v14, 0x7f800000, v42, vcc_lo
	v_cmp_ngt_f32_e32 vcc_lo, 0xc2ce8ed0, v33
	v_dual_add_f32 v55, v55, v83 :: v_dual_cndmask_b32 v42, 0, v50
	v_cmp_nlt_f32_e32 vcc_lo, 0x42b17218, v15
	s_delay_alu instid0(VALU_DEP_2)
	v_exp_f32_e32 v55, v55
	v_cndmask_b32_e32 v15, 0x7f800000, v43, vcc_lo
	v_cmp_ngt_f32_e32 vcc_lo, 0xc2ce8ed0, v34
	v_cndmask_b32_e32 v43, 0, v51, vcc_lo
	v_cmp_nlt_f32_e32 vcc_lo, 0x42b17218, v33
	s_waitcnt_depctr 0xfff
	v_ldexp_f32 v55, v55, v84
	v_cndmask_b32_e32 v33, 0x7f800000, v42, vcc_lo
	v_cmp_ngt_f32_e32 vcc_lo, 0xc2ce8ed0, v37
	v_dual_fmac_f32 v87, 0x32a5705f, v40 :: v_dual_cndmask_b32 v42, 0, v54
	v_cmp_nlt_f32_e32 vcc_lo, 0x42b17218, v34
	s_delay_alu instid0(VALU_DEP_2) | instskip(SKIP_2) | instid1(VALU_DEP_3)
	v_add_f32_e32 v57, v57, v87
	v_cndmask_b32_e32 v34, 0x7f800000, v43, vcc_lo
	v_cmp_ngt_f32_e32 vcc_lo, 0xc2ce8ed0, v38
	v_exp_f32_e32 v57, v57
	v_cndmask_b32_e32 v43, 0, v55, vcc_lo
	v_cmp_nlt_f32_e32 vcc_lo, 0x42b17218, v37
	v_cndmask_b32_e32 v37, 0x7f800000, v42, vcc_lo
	v_cmp_ngt_f32_e32 vcc_lo, 0xc2ce8ed0, v39
	s_waitcnt_depctr 0xfff
	v_ldexp_f32 v57, v57, v88
	v_cndmask_b32_e32 v42, 0, v56, vcc_lo
	v_cmp_nlt_f32_e32 vcc_lo, 0x42b17218, v38
	v_dual_add_f32 v41, v10, v41 :: v_dual_cndmask_b32 v38, 0x7f800000, v43
	v_cmp_ngt_f32_e32 vcc_lo, 0xc2ce8ed0, v40
	v_cndmask_b32_e32 v43, 0, v57, vcc_lo
	v_cmp_nlt_f32_e32 vcc_lo, 0x42b17218, v39
	v_cndmask_b32_e32 v39, 0x7f800000, v42, vcc_lo
	v_cmp_ngt_f32_e32 vcc_lo, 0xc2ce8ed0, v1
	v_cndmask_b32_e32 v42, 0, v58, vcc_lo
	v_cmp_nlt_f32_e32 vcc_lo, 0x42b17218, v40
	v_dual_add_f32 v41, v11, v41 :: v_dual_cndmask_b32 v40, 0x7f800000, v43
	s_delay_alu instid0(VALU_DEP_1) | instskip(SKIP_1) | instid1(VALU_DEP_2)
	v_add_f32_e32 v41, v12, v41
	v_cmp_nlt_f32_e32 vcc_lo, 0x42b17218, v1
	v_dual_add_f32 v41, v13, v41 :: v_dual_cndmask_b32 v42, 0x7f800000, v42
	s_delay_alu instid0(VALU_DEP_1) | instskip(NEXT) | instid1(VALU_DEP_1)
	v_add_f32_e32 v41, v14, v41
	v_add_f32_e32 v41, v15, v41
	s_delay_alu instid0(VALU_DEP_1) | instskip(NEXT) | instid1(VALU_DEP_1)
	v_add_f32_e32 v41, v33, v41
	v_add_f32_e32 v41, v34, v41
	;; [unrolled: 3-line block ×4, first 2 shown]
	s_delay_alu instid0(VALU_DEP_1)
	v_add_f32_e32 v1, v42, v1
	ds_bpermute_b32 v3, v3, v1
	s_waitcnt lgkmcnt(0)
	v_add_f32_e32 v1, v1, v3
	ds_bpermute_b32 v3, v5, v1
	s_waitcnt lgkmcnt(0)
	;; [unrolled: 3-line block ×5, first 2 shown]
	v_add_f32_e32 v1, v1, v2
	s_delay_alu instid0(VALU_DEP_1) | instskip(SKIP_1) | instid1(VALU_DEP_2)
	v_div_scale_f32 v2, null, v1, v1, 1.0
	v_div_scale_f32 v6, vcc_lo, 1.0, v1, 1.0
	v_rcp_f32_e32 v3, v2
	s_waitcnt_depctr 0xfff
	v_fma_f32 v5, -v2, v3, 1.0
	s_delay_alu instid0(VALU_DEP_1) | instskip(NEXT) | instid1(VALU_DEP_1)
	v_fmac_f32_e32 v3, v5, v3
	v_mul_f32_e32 v5, v6, v3
	s_delay_alu instid0(VALU_DEP_1) | instskip(NEXT) | instid1(VALU_DEP_1)
	v_fma_f32 v7, -v2, v5, v6
	v_fmac_f32_e32 v5, v7, v3
	s_delay_alu instid0(VALU_DEP_1) | instskip(NEXT) | instid1(VALU_DEP_1)
	v_fma_f32 v2, -v2, v5, v6
	v_div_fmas_f32 v2, v2, v3, v5
	s_delay_alu instid0(VALU_DEP_1) | instskip(NEXT) | instid1(VALU_DEP_1)
	v_div_fixup_f32 v41, v2, v1, 1.0
	v_mul_f32_e32 v1, v4, v41
	v_mul_f32_e32 v2, v8, v41
	;; [unrolled: 1-line block ×16, first 2 shown]
	s_cbranch_execz .LBB20_5
	s_branch .LBB20_6
.LBB20_4:
                                        ; implicit-def: $vgpr12
                                        ; implicit-def: $vgpr13
                                        ; implicit-def: $vgpr14
                                        ; implicit-def: $vgpr15
                                        ; implicit-def: $vgpr33
                                        ; implicit-def: $vgpr9
                                        ; implicit-def: $vgpr10
                                        ; implicit-def: $vgpr11
                                        ; implicit-def: $vgpr8
                                        ; implicit-def: $vgpr7
                                        ; implicit-def: $vgpr6
                                        ; implicit-def: $vgpr4
                                        ; implicit-def: $vgpr5
                                        ; implicit-def: $vgpr3
                                        ; implicit-def: $vgpr2
                                        ; implicit-def: $vgpr1
.LBB20_5:
	s_waitcnt vmcnt(14)
	v_dual_mul_f32 v1, 0xbfb8aa3b, v53 :: v_dual_mul_f32 v2, 0xbfb8aa3b, v52
	s_waitcnt vmcnt(12)
	v_dual_mul_f32 v5, 0xbfb8aa3b, v31 :: v_dual_mul_f32 v8, 0xbfb8aa3b, v30
	v_cmp_nlt_f32_e32 vcc_lo, 0x42ce8ed0, v53
	s_delay_alu instid0(VALU_DEP_3) | instskip(SKIP_4) | instid1(VALU_DEP_4)
	v_rndne_f32_e32 v3, v1
	v_fma_f32 v4, 0xbfb8aa3b, v53, -v1
	v_rndne_f32_e32 v6, v2
	v_fma_f32 v7, 0xbfb8aa3b, v52, -v2
	v_fma_f32 v10, 0xbfb8aa3b, v31, -v5
	v_dual_sub_f32 v1, v1, v3 :: v_dual_fmac_f32 v4, 0xb2a5705f, v53
	s_delay_alu instid0(VALU_DEP_3) | instskip(SKIP_2) | instid1(VALU_DEP_3)
	v_dual_sub_f32 v2, v2, v6 :: v_dual_fmac_f32 v7, 0xb2a5705f, v52
	s_waitcnt vmcnt(11)
	v_mul_f32_e32 v9, 0xbfb8aa3b, v29
	v_dual_fmac_f32 v10, 0xb2a5705f, v31 :: v_dual_add_f32 v1, v1, v4
	v_cvt_i32_f32_e32 v3, v3
	v_add_f32_e32 v2, v2, v7
	v_cvt_i32_f32_e32 v6, v6
	v_rndne_f32_e32 v4, v5
	v_exp_f32_e32 v1, v1
	v_rndne_f32_e32 v7, v8
	v_exp_f32_e32 v2, v2
	v_fma_f32 v11, 0xbfb8aa3b, v30, -v8
	v_rndne_f32_e32 v12, v9
	v_fma_f32 v13, 0xbfb8aa3b, v29, -v9
	v_dual_sub_f32 v5, v5, v4 :: v_dual_sub_f32 v8, v8, v7
	s_delay_alu instid0(VALU_DEP_4) | instskip(SKIP_1) | instid1(TRANS32_DEP_2)
	v_fmac_f32_e32 v11, 0xb2a5705f, v30
	v_cvt_i32_f32_e32 v4, v4
	v_ldexp_f32 v1, v1, v3
	v_fmac_f32_e32 v13, 0xb2a5705f, v29
	s_delay_alu instid0(TRANS32_DEP_1)
	v_ldexp_f32 v2, v2, v6
	v_add_f32_e32 v3, v5, v10
	v_cvt_i32_f32_e32 v6, v7
	v_cndmask_b32_e32 v1, 0, v1, vcc_lo
	v_cmp_nlt_f32_e32 vcc_lo, 0x42ce8ed0, v52
	v_cmp_ngt_f32_e64 s1, 0xc2b17218, v30
	s_waitcnt vmcnt(10)
	v_dual_mul_f32 v33, 0xbfb8aa3b, v28 :: v_dual_cndmask_b32 v2, 0, v2
	v_cmp_ngt_f32_e32 vcc_lo, 0xc2b17218, v53
	v_cndmask_b32_e32 v1, 0x7f800000, v1, vcc_lo
	v_cmp_ngt_f32_e32 vcc_lo, 0xc2b17218, v52
	v_dual_add_f32 v5, v8, v11 :: v_dual_sub_f32 v8, v9, v12
	v_cndmask_b32_e32 v2, 0x7f800000, v2, vcc_lo
	s_delay_alu instid0(VALU_DEP_2) | instskip(NEXT) | instid1(VALU_DEP_2)
	v_exp_f32_e32 v5, v5
	v_add_f32_e32 v8, v8, v13
	v_exp_f32_e32 v3, v3
	v_cmp_nlt_f32_e32 vcc_lo, 0x42ce8ed0, v31
	v_add_f32_e32 v2, 1.0, v2
	s_delay_alu instid0(VALU_DEP_3) | instskip(NEXT) | instid1(TRANS32_DEP_3)
	v_exp_f32_e32 v8, v8
	v_ldexp_f32 v5, v5, v6
	s_waitcnt_depctr 0xfff
	v_ldexp_f32 v3, v3, v4
	v_div_scale_f32 v4, null, v2, v2, 1.0
	s_delay_alu instid0(VALU_DEP_1) | instskip(SKIP_2) | instid1(VALU_DEP_1)
	v_rcp_f32_e32 v6, v4
	s_waitcnt_depctr 0xfff
	v_fma_f32 v13, -v4, v6, 1.0
	v_dual_add_f32 v1, 1.0, v1 :: v_dual_fmac_f32 v6, v13, v6
	s_delay_alu instid0(VALU_DEP_1) | instskip(NEXT) | instid1(VALU_DEP_1)
	v_div_scale_f32 v7, null, v1, v1, 1.0
	v_rcp_f32_e32 v9, v7
	s_waitcnt_depctr 0xfff
	v_fma_f32 v10, -v7, v9, 1.0
	s_delay_alu instid0(VALU_DEP_1) | instskip(SKIP_3) | instid1(VALU_DEP_2)
	v_fmac_f32_e32 v9, v10, v9
	v_div_scale_f32 v10, s0, 1.0, v2, 1.0
	v_cndmask_b32_e32 v3, 0, v3, vcc_lo
	v_cmp_ngt_f32_e32 vcc_lo, 0xc2b17218, v31
	v_cndmask_b32_e32 v3, 0x7f800000, v3, vcc_lo
	v_cmp_nlt_f32_e32 vcc_lo, 0x42ce8ed0, v30
	v_mul_f32_e32 v30, v10, v6
	s_delay_alu instid0(VALU_DEP_1) | instskip(NEXT) | instid1(VALU_DEP_1)
	v_fma_f32 v34, -v4, v30, v10
	v_fmac_f32_e32 v30, v34, v6
	v_fma_f32 v34, 0xbfb8aa3b, v28, -v33
	v_cndmask_b32_e32 v5, 0, v5, vcc_lo
	v_div_scale_f32 v11, vcc_lo, 1.0, v1, 1.0
	s_delay_alu instid0(VALU_DEP_4) | instskip(NEXT) | instid1(VALU_DEP_4)
	v_fma_f32 v4, -v4, v30, v10
	v_fmac_f32_e32 v34, 0xb2a5705f, v28
	s_delay_alu instid0(VALU_DEP_4) | instskip(NEXT) | instid1(VALU_DEP_4)
	v_cndmask_b32_e64 v5, 0x7f800000, v5, s1
	v_mul_f32_e32 v13, v11, v9
	s_delay_alu instid0(VALU_DEP_1) | instskip(NEXT) | instid1(VALU_DEP_1)
	v_fma_f32 v31, -v7, v13, v11
	v_fmac_f32_e32 v13, v31, v9
	s_delay_alu instid0(VALU_DEP_1) | instskip(SKIP_2) | instid1(VALU_DEP_3)
	v_fma_f32 v7, -v7, v13, v11
	v_cvt_i32_f32_e32 v11, v12
	v_rndne_f32_e32 v12, v33
	v_div_fmas_f32 v7, v7, v9, v13
	v_cmp_nlt_f32_e32 vcc_lo, 0x42ce8ed0, v29
	s_delay_alu instid0(VALU_DEP_2) | instskip(SKIP_3) | instid1(VALU_DEP_2)
	v_div_fixup_f32 v1, v7, v1, 1.0
	v_ldexp_f32 v7, v8, v11
	v_dual_sub_f32 v8, v33, v12 :: v_dual_add_f32 v3, 1.0, v3
	v_cvt_i32_f32_e32 v12, v12
	v_dual_cndmask_b32 v7, 0, v7 :: v_dual_add_f32 v8, v8, v34
	s_mov_b32 vcc_lo, s0
	s_delay_alu instid0(VALU_DEP_3) | instskip(SKIP_1) | instid1(VALU_DEP_3)
	v_div_scale_f32 v14, null, v3, v3, 1.0
	v_div_fmas_f32 v4, v4, v6, v30
	v_exp_f32_e32 v8, v8
	v_cmp_ngt_f32_e32 vcc_lo, 0xc2b17218, v29
	s_delay_alu instid0(VALU_DEP_3) | instskip(SKIP_4) | instid1(TRANS32_DEP_2)
	v_rcp_f32_e32 v15, v14
	v_div_scale_f32 v31, s1, 1.0, v3, 1.0
	v_div_fixup_f32 v2, v4, v2, 1.0
	v_cndmask_b32_e32 v7, 0x7f800000, v7, vcc_lo
	v_cmp_nlt_f32_e32 vcc_lo, 0x42ce8ed0, v28
	v_ldexp_f32 v8, v8, v12
	s_waitcnt_depctr 0xfff
	v_fma_f32 v37, -v14, v15, 1.0
	v_cndmask_b32_e32 v8, 0, v8, vcc_lo
	v_cmp_ngt_f32_e32 vcc_lo, 0xc2b17218, v28
	s_delay_alu instid0(VALU_DEP_2) | instskip(SKIP_3) | instid1(VALU_DEP_3)
	v_dual_add_f32 v7, 1.0, v7 :: v_dual_cndmask_b32 v8, 0x7f800000, v8
	s_waitcnt vmcnt(9)
	v_cmp_nlt_f32_e32 vcc_lo, 0x42ce8ed0, v27
	v_mul_f32_e32 v13, 0xbfb8aa3b, v27
	v_div_scale_f32 v33, null, v7, v7, 1.0
	v_add_f32_e32 v8, 1.0, v8
	s_delay_alu instid0(VALU_DEP_3) | instskip(SKIP_2) | instid1(VALU_DEP_3)
	v_rndne_f32_e32 v29, v13
	v_fma_f32 v30, 0xbfb8aa3b, v27, -v13
	v_add_f32_e32 v5, 1.0, v5
	v_sub_f32_e32 v12, v13, v29
	s_delay_alu instid0(VALU_DEP_3) | instskip(NEXT) | instid1(VALU_DEP_3)
	v_fmac_f32_e32 v30, 0xb2a5705f, v27
	v_div_scale_f32 v9, null, v5, v5, 1.0
	v_fmac_f32_e32 v15, v37, v15
	v_cvt_i32_f32_e32 v29, v29
	s_delay_alu instid0(VALU_DEP_4) | instskip(NEXT) | instid1(VALU_DEP_4)
	v_add_f32_e32 v12, v12, v30
	v_rcp_f32_e32 v11, v9
	v_div_scale_f32 v13, s0, 1.0, v5, 1.0
	v_mul_f32_e32 v10, v31, v15
	s_delay_alu instid0(VALU_DEP_3) | instskip(NEXT) | instid1(VALU_DEP_1)
	v_exp_f32_e32 v4, v12
	v_fma_f32 v6, -v14, v10, v31
	s_delay_alu instid0(VALU_DEP_1) | instskip(SKIP_4) | instid1(VALU_DEP_3)
	v_fmac_f32_e32 v10, v6, v15
	s_waitcnt_depctr 0xfff
	v_fma_f32 v6, -v9, v11, 1.0
	v_ldexp_f32 v4, v4, v29
	v_fma_f32 v14, -v14, v10, v31
	v_fmac_f32_e32 v11, v6, v11
	v_rcp_f32_e32 v6, v33
	s_delay_alu instid0(VALU_DEP_3) | instskip(SKIP_4) | instid1(VALU_DEP_3)
	v_cndmask_b32_e32 v4, 0, v4, vcc_lo
	s_mov_b32 vcc_lo, s1
	v_div_scale_f32 v31, null, v8, v8, 1.0
	v_div_fmas_f32 v10, v14, v15, v10
	v_cmp_ngt_f32_e32 vcc_lo, 0xc2b17218, v27
	v_rcp_f32_e32 v29, v31
	s_waitcnt_depctr 0xfff
	v_fma_f32 v28, -v33, v6, 1.0
	v_cndmask_b32_e32 v4, 0x7f800000, v4, vcc_lo
	v_div_fixup_f32 v3, v10, v3, 1.0
	s_mov_b32 vcc_lo, s0
	s_delay_alu instid0(VALU_DEP_3) | instskip(SKIP_2) | instid1(VALU_DEP_2)
	v_fmac_f32_e32 v6, v28, v6
	v_div_scale_f32 v28, s2, 1.0, v7, 1.0
	v_fma_f32 v15, -v31, v29, 1.0
	v_mul_f32_e32 v14, v28, v6
	s_delay_alu instid0(VALU_DEP_2) | instskip(NEXT) | instid1(VALU_DEP_2)
	v_dual_mul_f32 v12, v13, v11 :: v_dual_fmac_f32 v29, v15, v29
	v_fma_f32 v10, -v33, v14, v28
	s_delay_alu instid0(VALU_DEP_2) | instskip(NEXT) | instid1(VALU_DEP_2)
	v_fma_f32 v30, -v9, v12, v13
	v_fmac_f32_e32 v14, v10, v6
	s_delay_alu instid0(VALU_DEP_2) | instskip(SKIP_1) | instid1(VALU_DEP_2)
	v_fmac_f32_e32 v12, v30, v11
	v_div_scale_f32 v30, s1, 1.0, v8, 1.0
	v_fma_f32 v9, -v9, v12, v13
	s_waitcnt vmcnt(8)
	v_dual_add_f32 v13, 1.0, v4 :: v_dual_mul_f32 v4, 0xbfb8aa3b, v26
	s_delay_alu instid0(VALU_DEP_2) | instskip(NEXT) | instid1(VALU_DEP_2)
	v_div_fmas_f32 v9, v9, v11, v12
	v_div_scale_f32 v10, null, v13, v13, 1.0
	s_delay_alu instid0(VALU_DEP_3) | instskip(SKIP_4) | instid1(VALU_DEP_2)
	v_rndne_f32_e32 v15, v4
	v_fma_f32 v27, 0xbfb8aa3b, v26, -v4
	v_fma_f32 v11, -v33, v14, v28
	s_mov_b32 vcc_lo, s2
	v_rcp_f32_e32 v34, v10
	v_dual_sub_f32 v4, v4, v15 :: v_dual_fmac_f32 v27, 0xb2a5705f, v26
	s_delay_alu instid0(VALU_DEP_2) | instskip(SKIP_2) | instid1(VALU_DEP_4)
	v_div_fmas_f32 v6, v11, v6, v14
	v_div_fixup_f32 v5, v9, v5, 1.0
	v_div_scale_f32 v9, s0, 1.0, v13, 1.0
	v_add_f32_e32 v4, v4, v27
	v_cmp_nlt_f32_e32 vcc_lo, 0x42ce8ed0, v26
	s_delay_alu instid0(TRANS32_DEP_1) | instskip(NEXT) | instid1(VALU_DEP_3)
	v_fma_f32 v14, -v10, v34, 1.0
	v_exp_f32_e32 v27, v4
	v_div_fixup_f32 v4, v6, v7, 1.0
	s_waitcnt vmcnt(7)
	v_mul_f32_e32 v7, 0xbfb8aa3b, v25
	v_cvt_i32_f32_e32 v6, v15
	s_delay_alu instid0(VALU_DEP_2) | instskip(SKIP_4) | instid1(VALU_DEP_1)
	v_fma_f32 v15, 0xbfb8aa3b, v25, -v7
	s_waitcnt_depctr 0xfff
	v_ldexp_f32 v6, v27, v6
	v_dual_fmac_f32 v15, 0xb2a5705f, v25 :: v_dual_fmac_f32 v34, v14, v34
	v_rndne_f32_e32 v14, v7
	v_dual_mul_f32 v12, v30, v29 :: v_dual_sub_f32 v7, v7, v14
	s_delay_alu instid0(VALU_DEP_1) | instskip(SKIP_1) | instid1(VALU_DEP_3)
	v_fma_f32 v11, -v31, v12, v30
	v_cvt_i32_f32_e32 v14, v14
	v_add_f32_e32 v7, v7, v15
	v_mul_f32_e32 v27, v9, v34
	s_waitcnt vmcnt(6)
	v_dual_mul_f32 v15, 0xbfb8aa3b, v24 :: v_dual_cndmask_b32 v6, 0, v6
	s_mov_b32 vcc_lo, s1
	v_exp_f32_e32 v7, v7
	s_waitcnt_depctr 0xfff
	v_ldexp_f32 v7, v7, v14
	v_fmac_f32_e32 v12, v11, v29
	s_delay_alu instid0(VALU_DEP_1) | instskip(NEXT) | instid1(VALU_DEP_1)
	v_fma_f32 v11, -v31, v12, v30
	v_div_fmas_f32 v11, v11, v29, v12
	v_cmp_ngt_f32_e32 vcc_lo, 0xc2b17218, v26
	v_fma_f32 v12, -v10, v27, v9
	v_cndmask_b32_e32 v26, 0x7f800000, v6, vcc_lo
	v_cmp_nlt_f32_e32 vcc_lo, 0x42ce8ed0, v25
	s_delay_alu instid0(VALU_DEP_3)
	v_fmac_f32_e32 v27, v12, v34
	v_div_fixup_f32 v6, v11, v8, 1.0
	v_rndne_f32_e32 v11, v15
	v_fma_f32 v12, 0xbfb8aa3b, v24, -v15
	v_cndmask_b32_e32 v7, 0, v7, vcc_lo
	v_cmp_ngt_f32_e32 vcc_lo, 0xc2b17218, v25
	v_add_f32_e32 v8, 1.0, v26
	s_waitcnt vmcnt(5)
	v_mul_f32_e32 v26, 0xbfb8aa3b, v23
	v_fma_f32 v9, -v10, v27, v9
	v_sub_f32_e32 v15, v15, v11
	v_cndmask_b32_e32 v7, 0x7f800000, v7, vcc_lo
	s_mov_b32 vcc_lo, s0
	v_div_scale_f32 v28, null, v8, v8, 1.0
	v_div_fmas_f32 v9, v9, v34, v27
	v_cmp_nlt_f32_e32 vcc_lo, 0x42ce8ed0, v24
	v_fmac_f32_e32 v12, 0xb2a5705f, v24
	v_rndne_f32_e32 v29, v26
	v_fma_f32 v30, 0xbfb8aa3b, v23, -v26
	v_rcp_f32_e32 v31, v28
	v_cvt_i32_f32_e32 v11, v11
	v_add_f32_e32 v12, v15, v12
	v_sub_f32_e32 v14, v26, v29
	v_fmac_f32_e32 v30, 0xb2a5705f, v23
	v_cmp_ngt_f32_e64 s0, 0xc2b17218, v23
	s_delay_alu instid0(VALU_DEP_4) | instskip(NEXT) | instid1(VALU_DEP_2)
	v_exp_f32_e32 v10, v12
	v_add_f32_e32 v12, v14, v30
	s_delay_alu instid0(TRANS32_DEP_2) | instskip(NEXT) | instid1(VALU_DEP_2)
	v_fma_f32 v14, -v28, v31, 1.0
	v_exp_f32_e32 v12, v12
	s_delay_alu instid0(VALU_DEP_1)
	v_fmac_f32_e32 v31, v14, v31
	v_add_f32_e32 v14, 1.0, v7
	s_waitcnt_depctr 0xfff
	v_ldexp_f32 v10, v10, v11
	v_cvt_i32_f32_e32 v11, v29
	s_waitcnt vmcnt(4)
	v_mul_f32_e32 v29, 0xbfb8aa3b, v22
	s_delay_alu instid0(VALU_DEP_3) | instskip(SKIP_2) | instid1(VALU_DEP_4)
	v_cndmask_b32_e32 v7, 0, v10, vcc_lo
	v_cmp_ngt_f32_e32 vcc_lo, 0xc2b17218, v24
	v_ldexp_f32 v10, v12, v11
	v_rndne_f32_e32 v33, v29
	v_fma_f32 v34, 0xbfb8aa3b, v22, -v29
	v_div_scale_f32 v11, null, v14, v14, 1.0
	v_cndmask_b32_e32 v7, 0x7f800000, v7, vcc_lo
	v_cmp_nlt_f32_e32 vcc_lo, 0x42ce8ed0, v23
	s_delay_alu instid0(VALU_DEP_4) | instskip(NEXT) | instid1(VALU_DEP_4)
	v_dual_sub_f32 v29, v29, v33 :: v_dual_fmac_f32 v34, 0xb2a5705f, v22
	v_rcp_f32_e32 v15, v11
	s_delay_alu instid0(VALU_DEP_3) | instskip(SKIP_4) | instid1(VALU_DEP_4)
	v_add_f32_e32 v24, 1.0, v7
	v_cndmask_b32_e32 v10, 0, v10, vcc_lo
	v_div_fixup_f32 v7, v9, v13, 1.0
	v_div_scale_f32 v12, vcc_lo, 1.0, v8, 1.0
	v_add_f32_e32 v29, v29, v34
	v_cndmask_b32_e64 v10, 0x7f800000, v10, s0
	v_div_scale_f32 v25, null, v24, v24, 1.0
	s_delay_alu instid0(VALU_DEP_4) | instskip(NEXT) | instid1(TRANS32_DEP_1)
	v_mul_f32_e32 v23, v12, v31
	v_fma_f32 v13, -v11, v15, 1.0
	s_delay_alu instid0(VALU_DEP_4) | instskip(NEXT) | instid1(VALU_DEP_4)
	v_add_f32_e32 v9, 1.0, v10
	v_rcp_f32_e32 v26, v25
	v_exp_f32_e32 v29, v29
	v_fma_f32 v10, -v28, v23, v12
	v_fmac_f32_e32 v15, v13, v15
	v_div_scale_f32 v27, null, v9, v9, 1.0
	v_div_scale_f32 v13, s0, 1.0, v14, 1.0
	s_delay_alu instid0(VALU_DEP_2) | instskip(NEXT) | instid1(TRANS32_DEP_3)
	v_rcp_f32_e32 v30, v27
	v_fma_f32 v37, -v25, v26, 1.0
	s_delay_alu instid0(VALU_DEP_1) | instskip(NEXT) | instid1(VALU_DEP_1)
	v_dual_fmac_f32 v23, v10, v31 :: v_dual_fmac_f32 v26, v37, v26
	v_fma_f32 v12, -v28, v23, v12
	v_div_scale_f32 v37, s1, 1.0, v24, 1.0
	s_waitcnt_depctr 0xfff
	v_fma_f32 v38, -v27, v30, 1.0
	v_div_fmas_f32 v12, v12, v31, v23
	v_mul_f32_e32 v34, v37, v26
	v_cvt_i32_f32_e32 v23, v33
	s_delay_alu instid0(VALU_DEP_4) | instskip(SKIP_4) | instid1(VALU_DEP_4)
	v_fmac_f32_e32 v30, v38, v30
	v_div_scale_f32 v38, s2, 1.0, v9, 1.0
	v_mul_f32_e32 v10, v13, v15
	v_div_fixup_f32 v8, v12, v8, 1.0
	v_ldexp_f32 v12, v29, v23
	v_mul_f32_e32 v31, v38, v30
	v_cmp_nlt_f32_e32 vcc_lo, 0x42ce8ed0, v22
	v_fma_f32 v28, -v11, v10, v13
	s_delay_alu instid0(VALU_DEP_1) | instskip(NEXT) | instid1(VALU_DEP_1)
	v_fmac_f32_e32 v10, v28, v15
	v_fma_f32 v11, -v11, v10, v13
	v_fma_f32 v13, -v27, v31, v38
	s_delay_alu instid0(VALU_DEP_1)
	v_fmac_f32_e32 v31, v13, v30
	s_waitcnt vmcnt(3)
	v_mul_f32_e32 v13, 0xbfb8aa3b, v21
	v_fma_f32 v28, -v25, v34, v37
	v_cndmask_b32_e32 v12, 0, v12, vcc_lo
	s_mov_b32 vcc_lo, s0
	v_fma_f32 v23, -v27, v31, v38
	v_div_fmas_f32 v10, v11, v15, v10
	s_waitcnt vmcnt(2)
	v_dual_fmac_f32 v34, v28, v26 :: v_dual_mul_f32 v27, 0xbfb8aa3b, v20
	v_cmp_ngt_f32_e32 vcc_lo, 0xc2b17218, v22
	v_rndne_f32_e32 v22, v13
	s_delay_alu instid0(VALU_DEP_3) | instskip(SKIP_2) | instid1(VALU_DEP_2)
	v_fma_f32 v11, -v25, v34, v37
	v_cndmask_b32_e32 v12, 0x7f800000, v12, vcc_lo
	s_mov_b32 vcc_lo, s1
	v_div_fmas_f32 v15, v11, v26, v34
	v_fma_f32 v11, 0xbfb8aa3b, v21, -v13
	v_sub_f32_e32 v13, v13, v22
	s_mov_b32 vcc_lo, s2
	v_cvt_i32_f32_e32 v22, v22
	s_delay_alu instid0(VALU_DEP_3) | instskip(NEXT) | instid1(VALU_DEP_1)
	v_fmac_f32_e32 v11, 0xb2a5705f, v21
	v_add_f32_e32 v13, v13, v11
	v_div_fmas_f32 v23, v23, v30, v31
	v_div_fixup_f32 v11, v10, v14, 1.0
	v_rndne_f32_e32 v14, v27
	v_div_fixup_f32 v10, v15, v24, 1.0
	v_exp_f32_e32 v13, v13
	v_div_fixup_f32 v9, v23, v9, 1.0
	v_fma_f32 v15, 0xbfb8aa3b, v20, -v27
	v_dual_sub_f32 v27, v27, v14 :: v_dual_add_f32 v12, 1.0, v12
	s_waitcnt vmcnt(1)
	v_mul_f32_e32 v23, 0xbfb8aa3b, v19
	v_cmp_nlt_f32_e32 vcc_lo, 0x42ce8ed0, v21
	v_cvt_i32_f32_e32 v14, v14
	v_div_scale_f32 v25, null, v12, v12, 1.0
	s_delay_alu instid0(VALU_DEP_4) | instskip(SKIP_2) | instid1(VALU_DEP_4)
	v_rndne_f32_e32 v28, v23
	v_fma_f32 v29, 0xbfb8aa3b, v19, -v23
	v_ldexp_f32 v13, v13, v22
	v_rcp_f32_e32 v26, v25
	s_delay_alu instid0(VALU_DEP_2) | instskip(NEXT) | instid1(VALU_DEP_1)
	v_dual_sub_f32 v22, v23, v28 :: v_dual_fmac_f32 v29, 0xb2a5705f, v19
	v_dual_fmac_f32 v15, 0xb2a5705f, v20 :: v_dual_add_f32 v22, v22, v29
	s_waitcnt vmcnt(0)
	s_delay_alu instid0(VALU_DEP_1)
	v_dual_mul_f32 v30, 0xbfb8aa3b, v18 :: v_dual_add_f32 v15, v27, v15
	s_waitcnt_depctr 0xfff
	v_fma_f32 v24, -v25, v26, 1.0
	v_rndne_f32_e32 v23, v30
	v_fma_f32 v27, 0xbfb8aa3b, v18, -v30
	v_exp_f32_e32 v15, v15
	s_delay_alu instid0(VALU_DEP_3)
	v_fmac_f32_e32 v26, v24, v26
	v_cvt_i32_f32_e32 v24, v28
	v_sub_f32_e32 v29, v30, v23
	v_fmac_f32_e32 v27, 0xb2a5705f, v18
	v_cndmask_b32_e32 v13, 0, v13, vcc_lo
	v_cmp_ngt_f32_e32 vcc_lo, 0xc2b17218, v21
	v_exp_f32_e32 v21, v22
	v_cvt_i32_f32_e32 v23, v23
	v_add_f32_e32 v22, v29, v27
	v_ldexp_f32 v14, v15, v14
	v_cndmask_b32_e32 v13, 0x7f800000, v13, vcc_lo
	v_cmp_nlt_f32_e32 vcc_lo, 0x42ce8ed0, v20
	s_delay_alu instid0(VALU_DEP_4) | instskip(NEXT) | instid1(TRANS32_DEP_2)
	v_exp_f32_e32 v15, v22
	v_ldexp_f32 v21, v21, v24
	v_cndmask_b32_e32 v14, 0, v14, vcc_lo
	v_cmp_nlt_f32_e32 vcc_lo, 0x42ce8ed0, v19
	s_delay_alu instid0(VALU_DEP_3)
	v_cndmask_b32_e32 v21, 0, v21, vcc_lo
	v_cmp_ngt_f32_e32 vcc_lo, 0xc2b17218, v20
	s_waitcnt_depctr 0xfff
	v_ldexp_f32 v15, v15, v23
	v_cndmask_b32_e32 v14, 0x7f800000, v14, vcc_lo
	v_cmp_ngt_f32_e32 vcc_lo, 0xc2b17218, v19
	v_cndmask_b32_e32 v19, 0x7f800000, v21, vcc_lo
	v_cmp_nlt_f32_e32 vcc_lo, 0x42ce8ed0, v18
	s_delay_alu instid0(VALU_DEP_2) | instskip(SKIP_3) | instid1(VALU_DEP_4)
	v_dual_add_f32 v19, 1.0, v19 :: v_dual_add_f32 v14, 1.0, v14
	v_cndmask_b32_e32 v15, 0, v15, vcc_lo
	v_cmp_ngt_f32_e32 vcc_lo, 0xc2b17218, v18
	v_add_f32_e32 v13, 1.0, v13
	v_div_scale_f32 v18, null, v19, v19, 1.0
	v_div_scale_f32 v21, null, v14, v14, 1.0
	s_delay_alu instid0(VALU_DEP_3) | instskip(NEXT) | instid1(VALU_DEP_3)
	v_div_scale_f32 v22, null, v13, v13, 1.0
	v_rcp_f32_e32 v28, v18
	s_delay_alu instid0(VALU_DEP_2) | instskip(NEXT) | instid1(VALU_DEP_1)
	v_rcp_f32_e32 v24, v21
	v_rcp_f32_e32 v20, v22
	s_delay_alu instid0(TRANS32_DEP_3) | instskip(SKIP_3) | instid1(VALU_DEP_2)
	v_fma_f32 v37, -v18, v28, 1.0
	s_waitcnt_depctr 0xfff
	v_fma_f32 v31, -v21, v24, 1.0
	v_fmac_f32_e32 v28, v37, v28
	v_fmac_f32_e32 v24, v31, v24
	v_div_scale_f32 v31, s1, 1.0, v14, 1.0
	v_cndmask_b32_e32 v15, 0x7f800000, v15, vcc_lo
	v_div_scale_f32 v23, vcc_lo, 1.0, v12, 1.0
	s_delay_alu instid0(VALU_DEP_3) | instskip(SKIP_1) | instid1(VALU_DEP_4)
	v_mul_f32_e32 v40, v31, v24
	v_div_scale_f32 v37, s2, 1.0, v19, 1.0
	v_add_f32_e32 v27, 1.0, v15
	v_fma_f32 v15, -v22, v20, 1.0
	v_mul_f32_e32 v29, v23, v26
	s_delay_alu instid0(VALU_DEP_2) | instskip(SKIP_1) | instid1(VALU_DEP_3)
	v_fmac_f32_e32 v20, v15, v20
	v_div_scale_f32 v15, s0, 1.0, v13, 1.0
	v_fma_f32 v34, -v25, v29, v23
	s_delay_alu instid0(VALU_DEP_1) | instskip(NEXT) | instid1(VALU_DEP_1)
	v_dual_mul_f32 v38, v15, v20 :: v_dual_fmac_f32 v29, v34, v26
	v_fma_f32 v34, -v22, v38, v15
	s_delay_alu instid0(VALU_DEP_1) | instskip(SKIP_1) | instid1(VALU_DEP_2)
	v_fmac_f32_e32 v38, v34, v20
	v_div_scale_f32 v30, null, v27, v27, 1.0
	v_fma_f32 v15, -v22, v38, v15
	s_delay_alu instid0(VALU_DEP_2) | instskip(SKIP_2) | instid1(VALU_DEP_1)
	v_rcp_f32_e32 v33, v30
	s_waitcnt_depctr 0xfff
	v_fma_f32 v39, -v30, v33, 1.0
	v_fmac_f32_e32 v33, v39, v33
	v_div_scale_f32 v39, s3, 1.0, v27, 1.0
	s_delay_alu instid0(VALU_DEP_1) | instskip(SKIP_2) | instid1(VALU_DEP_3)
	v_mul_f32_e32 v42, v39, v33
	v_fma_f32 v23, -v25, v29, v23
	v_fma_f32 v25, -v21, v40, v31
	;; [unrolled: 1-line block ×3, first 2 shown]
	v_mul_f32_e32 v41, v37, v28
	s_delay_alu instid0(VALU_DEP_3)
	v_fmac_f32_e32 v40, v25, v24
	v_div_fmas_f32 v23, v23, v26, v29
	s_mov_b32 vcc_lo, s0
	v_fmac_f32_e32 v42, v22, v33
	v_fma_f32 v34, -v18, v41, v37
	v_div_fmas_f32 v15, v15, v20, v38
	v_fma_f32 v20, -v21, v40, v31
	s_mov_b32 vcc_lo, s1
	v_fma_f32 v21, -v30, v42, v39
	v_fmac_f32_e32 v41, v34, v28
	v_div_fixup_f32 v15, v15, v13, 1.0
	v_div_fmas_f32 v20, v20, v24, v40
	s_mov_b32 vcc_lo, s2
	s_delay_alu instid0(VALU_DEP_3) | instskip(NEXT) | instid1(VALU_DEP_2)
	v_fma_f32 v18, -v18, v41, v37
	v_div_fixup_f32 v14, v20, v14, 1.0
	s_delay_alu instid0(VALU_DEP_2) | instskip(SKIP_3) | instid1(VALU_DEP_3)
	v_div_fmas_f32 v18, v18, v28, v41
	s_mov_b32 vcc_lo, s3
	v_div_fmas_f32 v21, v21, v33, v42
	v_div_fixup_f32 v33, v23, v12, 1.0
	v_div_fixup_f32 v13, v18, v19, 1.0
	s_delay_alu instid0(VALU_DEP_3)
	v_div_fixup_f32 v12, v21, v27, 1.0
.LBB20_6:
	s_waitcnt vmcnt(14)
	v_dual_mov_b32 v53, v1 :: v_dual_mov_b32 v52, v2
	s_waitcnt vmcnt(12)
	v_dual_mov_b32 v31, v3 :: v_dual_mov_b32 v30, v5
	;; [unrolled: 2-line block ×6, first 2 shown]
	v_dual_mov_b32 v22, v33 :: v_dual_mov_b32 v21, v15
	s_waitcnt vmcnt(0)
	v_dual_mov_b32 v19, v13 :: v_dual_mov_b32 v18, v12
.LBB20_7:
	s_waitcnt vmcnt(16)
	v_lshrrev_b16 v0, 8, v0
	s_cmp_gt_i32 s17, 0
	s_delay_alu instid0(VALU_DEP_1)
	v_readfirstlane_b32 s21, v0
	s_cbranch_scc1 .LBB20_9
; %bb.8:
	s_mov_b32 s0, 0
	s_delay_alu instid0(VALU_DEP_1)
	s_bitcmp1_b32 s21, 0
	s_mov_b32 s1, s0
	s_mov_b32 s2, s0
	;; [unrolled: 1-line block ×15, first 2 shown]
	s_cselect_b32 s20, -1, 0
	s_branch .LBB20_10
.LBB20_9:
	s_mov_b32 s0, -1
                                        ; implicit-def: $sgpr20
.LBB20_10:
	s_delay_alu instid0(SALU_CYCLE_1) | instskip(SKIP_3) | instid1(VALU_DEP_4)
	v_cndmask_b32_e64 v0, 0, 1, s0
	v_add_nc_u32_e32 v51, 32, v36
	v_dual_mov_b32 v65, s0 :: v_dual_add_nc_u32 v50, 64, v36
	v_add_nc_u32_e32 v49, 0x60, v36
	v_cmp_ne_u32_e32 vcc_lo, 1, v0
	v_mov_b32_e32 v0, s0
	v_mov_b32_e32 v2, s2
	v_dual_mov_b32 v1, s1 :: v_dual_add_nc_u32 v48, 0x80, v36
	v_dual_mov_b32 v4, s4 :: v_dual_add_nc_u32 v47, 0xa0, v36
	;; [unrolled: 1-line block ×12, first 2 shown]
	v_mov_b32_e32 v13, s13
	v_mov_b32_e32 v15, s15
	v_mbcnt_lo_u32_b32 v54, -1, 0
	s_cbranch_vccnz .LBB20_37
; %bb.11:
	v_add_co_u32 v33, vcc_lo, s24, v16
	v_add_co_ci_u32_e32 v34, vcc_lo, s25, v17, vcc_lo
	s_waitcnt vmcnt(15)
	v_cmp_o_f32_e32 vcc_lo, v53, v53
	v_xor_b32_e32 v0, 16, v54
	v_xor_b32_e32 v1, 8, v54
	;; [unrolled: 1-line block ×4, first 2 shown]
	v_cndmask_b32_e32 v53, 0xff7fffff, v53, vcc_lo
	s_waitcnt vmcnt(14)
	v_cmp_o_f32_e32 vcc_lo, v52, v52
	s_bitcmp1_b32 s21, 0
	s_mov_b32 s1, 0
	s_cselect_b32 s20, -1, 0
	v_dual_mov_b32 v65, 0 :: v_dual_cndmask_b32 v52, 0xff7fffff, v52
	s_waitcnt vmcnt(13)
	v_cmp_o_f32_e32 vcc_lo, v31, v31
	s_delay_alu instid0(VALU_DEP_2)
	v_mov_b32_e32 v14, v65
	v_dual_mov_b32 v4, v65 :: v_dual_cndmask_b32 v55, 0xff7fffff, v31
	s_waitcnt vmcnt(12)
	v_cmp_o_f32_e32 vcc_lo, v30, v30
	v_mov_b32_e32 v5, v65
	v_mov_b32_e32 v7, v65
	;; [unrolled: 1-line block ×3, first 2 shown]
	v_dual_mov_b32 v9, v65 :: v_dual_cndmask_b32 v56, 0xff7fffff, v30
	s_waitcnt vmcnt(11)
	v_cmp_o_f32_e32 vcc_lo, v29, v29
	v_mov_b32_e32 v11, v65
	v_mov_b32_e32 v8, v65
	;; [unrolled: 1-line block ×4, first 2 shown]
	v_cndmask_b32_e32 v57, 0xff7fffff, v29, vcc_lo
	s_waitcnt vmcnt(10)
	v_cmp_o_f32_e32 vcc_lo, v28, v28
	v_mov_b32_e32 v15, v65
	v_mov_b32_e32 v12, v65
	v_cndmask_b32_e32 v58, 0xff7fffff, v28, vcc_lo
	s_waitcnt vmcnt(9)
	v_cmp_o_f32_e32 vcc_lo, v27, v27
	v_cndmask_b32_e32 v59, 0xff7fffff, v27, vcc_lo
	s_waitcnt vmcnt(8)
	v_cmp_o_f32_e32 vcc_lo, v26, v26
	;; [unrolled: 3-line block ×8, first 2 shown]
	v_cndmask_b32_e32 v67, 0xff7fffff, v20, vcc_lo
	v_cmp_gt_i32_e32 vcc_lo, 32, v0
	v_cndmask_b32_e32 v0, v54, v0, vcc_lo
	s_waitcnt vmcnt(1)
	v_cmp_o_f32_e32 vcc_lo, v19, v19
	s_delay_alu instid0(VALU_DEP_2)
	v_lshlrev_b32_e32 v70, 2, v0
	v_cndmask_b32_e32 v68, 0xff7fffff, v19, vcc_lo
	s_waitcnt vmcnt(0)
	v_cmp_o_f32_e32 vcc_lo, v18, v18
	v_xor_b32_e32 v0, 4, v54
	v_cndmask_b32_e32 v69, 0xff7fffff, v18, vcc_lo
	v_cmp_gt_i32_e32 vcc_lo, 32, v1
	v_cndmask_b32_e32 v1, v54, v1, vcc_lo
	s_delay_alu instid0(VALU_DEP_4) | instskip(NEXT) | instid1(VALU_DEP_2)
	v_cmp_gt_i32_e32 vcc_lo, 32, v0
	v_dual_cndmask_b32 v0, v54, v0 :: v_dual_lshlrev_b32 v71, 2, v1
	v_cmp_gt_i32_e32 vcc_lo, 32, v2
	s_delay_alu instid0(VALU_DEP_2) | instskip(SKIP_2) | instid1(VALU_DEP_2)
	v_dual_mov_b32 v1, v65 :: v_dual_lshlrev_b32 v72, 2, v0
	v_cndmask_b32_e32 v2, v54, v2, vcc_lo
	v_cmp_gt_i32_e32 vcc_lo, 32, v3
	v_dual_mov_b32 v0, 0 :: v_dual_lshlrev_b32 v73, 2, v2
	v_dual_cndmask_b32 v3, v54, v3 :: v_dual_mov_b32 v2, v65
	s_delay_alu instid0(VALU_DEP_1)
	v_dual_mov_b32 v3, v65 :: v_dual_lshlrev_b32 v74, 2, v3
	s_branch .LBB20_13
.LBB20_12:                              ;   in Loop: Header=BB20_13 Depth=1
	s_or_b32 exec_lo, exec_lo, s0
	s_and_b32 s2, s1, 31
	s_waitcnt lgkmcnt(0)
	v_dual_mov_b32 v31, v15 :: v_dual_mov_b32 v30, v14
	v_dual_mov_b32 v17, v1 :: v_dual_mov_b32 v16, v0
	v_cmp_eq_u32_e32 vcc_lo, s2, v36
	s_lshr_b32 s0, s1, 5
	v_dual_mov_b32 v29, v13 :: v_dual_mov_b32 v28, v12
	s_mov_b32 m0, s0
	v_dual_mov_b32 v27, v11 :: v_dual_mov_b32 v26, v10
	v_dual_mov_b32 v25, v9 :: v_dual_mov_b32 v24, v8
	;; [unrolled: 1-line block ×5, first 2 shown]
	v_movreld_b32_e32 v16, v75
	v_dual_cndmask_b32 v15, v15, v31 :: v_dual_cndmask_b32 v14, v14, v30
	v_dual_cndmask_b32 v13, v13, v29 :: v_dual_cndmask_b32 v12, v12, v28
	;; [unrolled: 1-line block ×8, first 2 shown]
	v_add_co_u32 v33, vcc_lo, v33, 4
	v_add_co_ci_u32_e32 v34, vcc_lo, 0, v34, vcc_lo
	s_add_i32 s1, s1, 1
	s_delay_alu instid0(SALU_CYCLE_1)
	s_cmp_eq_u32 s17, s1
	s_cbranch_scc1 .LBB20_37
.LBB20_13:                              ; =>This Inner Loop Header: Depth=1
	v_cmp_gt_f32_e32 vcc_lo, v52, v53
	s_mov_b32 s3, exec_lo
	v_dual_cndmask_b32 v16, v53, v52 :: v_dual_cndmask_b32 v17, v36, v51
	s_delay_alu instid0(VALU_DEP_1) | instskip(NEXT) | instid1(VALU_DEP_1)
	v_cmp_gt_f32_e64 s0, v55, v16
	v_cndmask_b32_e64 v16, v16, v55, s0
	s_delay_alu instid0(VALU_DEP_3) | instskip(NEXT) | instid1(VALU_DEP_2)
	v_cndmask_b32_e64 v17, v17, v50, s0
	v_cmp_gt_f32_e32 vcc_lo, v56, v16
	s_delay_alu instid0(VALU_DEP_2) | instskip(NEXT) | instid1(VALU_DEP_1)
	v_dual_cndmask_b32 v16, v16, v56 :: v_dual_cndmask_b32 v17, v17, v49
	v_cmp_gt_f32_e64 s0, v57, v16
	s_delay_alu instid0(VALU_DEP_1) | instskip(NEXT) | instid1(VALU_DEP_3)
	v_cndmask_b32_e64 v16, v16, v57, s0
	v_cndmask_b32_e64 v17, v17, v48, s0
	s_delay_alu instid0(VALU_DEP_2) | instskip(NEXT) | instid1(VALU_DEP_2)
	v_cmp_gt_f32_e32 vcc_lo, v58, v16
	v_dual_cndmask_b32 v16, v16, v58 :: v_dual_cndmask_b32 v17, v17, v47
	s_delay_alu instid0(VALU_DEP_1) | instskip(NEXT) | instid1(VALU_DEP_1)
	v_cmp_gt_f32_e64 s0, v59, v16
	v_cndmask_b32_e64 v16, v16, v59, s0
	s_delay_alu instid0(VALU_DEP_3) | instskip(NEXT) | instid1(VALU_DEP_2)
	v_cndmask_b32_e64 v17, v17, v46, s0
	v_cmp_gt_f32_e32 vcc_lo, v60, v16
	s_delay_alu instid0(VALU_DEP_2) | instskip(NEXT) | instid1(VALU_DEP_1)
	v_dual_cndmask_b32 v16, v16, v60 :: v_dual_cndmask_b32 v17, v17, v45
	v_cmp_gt_f32_e64 s0, v61, v16
	s_delay_alu instid0(VALU_DEP_1) | instskip(NEXT) | instid1(VALU_DEP_3)
	v_cndmask_b32_e64 v16, v16, v61, s0
	v_cndmask_b32_e64 v17, v17, v44, s0
	s_delay_alu instid0(VALU_DEP_2) | instskip(NEXT) | instid1(VALU_DEP_2)
	v_cmp_gt_f32_e32 vcc_lo, v62, v16
	v_dual_cndmask_b32 v16, v16, v62 :: v_dual_cndmask_b32 v17, v17, v43
	s_delay_alu instid0(VALU_DEP_1) | instskip(NEXT) | instid1(VALU_DEP_1)
	v_cmp_gt_f32_e64 s0, v63, v16
	v_cndmask_b32_e64 v16, v16, v63, s0
	s_delay_alu instid0(VALU_DEP_3) | instskip(NEXT) | instid1(VALU_DEP_2)
	v_cndmask_b32_e64 v17, v17, v42, s0
	v_cmp_gt_f32_e32 vcc_lo, v64, v16
	s_delay_alu instid0(VALU_DEP_2) | instskip(NEXT) | instid1(VALU_DEP_1)
	v_dual_cndmask_b32 v16, v16, v64 :: v_dual_cndmask_b32 v17, v17, v41
	v_cmp_gt_f32_e64 s0, v66, v16
	s_delay_alu instid0(VALU_DEP_1) | instskip(NEXT) | instid1(VALU_DEP_3)
	v_cndmask_b32_e64 v16, v16, v66, s0
	v_cndmask_b32_e64 v17, v17, v40, s0
	s_delay_alu instid0(VALU_DEP_2) | instskip(SKIP_1) | instid1(VALU_DEP_3)
	v_cmp_gt_f32_e32 vcc_lo, v67, v16
	v_cndmask_b32_e32 v16, v16, v67, vcc_lo
	v_cndmask_b32_e32 v17, v17, v39, vcc_lo
	s_delay_alu instid0(VALU_DEP_2) | instskip(NEXT) | instid1(VALU_DEP_1)
	v_cmp_gt_f32_e64 s0, v68, v16
	v_cndmask_b32_e64 v16, v16, v68, s0
	s_delay_alu instid0(VALU_DEP_1)
	v_cmp_gt_f32_e32 vcc_lo, v69, v16
	v_cndmask_b32_e32 v75, v16, v69, vcc_lo
	v_cndmask_b32_e64 v16, v17, v38, s0
	ds_bpermute_b32 v17, v70, v75
	v_cndmask_b32_e32 v16, v16, v37, vcc_lo
	ds_bpermute_b32 v18, v70, v16
	s_waitcnt lgkmcnt(1)
	v_cmp_lt_f32_e64 s2, v75, v17
	v_cmpx_nlt_f32_e32 v75, v17
	s_cbranch_execz .LBB20_15
; %bb.14:                               ;   in Loop: Header=BB20_13 Depth=1
	v_cmp_eq_f32_e32 vcc_lo, v75, v17
	s_waitcnt lgkmcnt(0)
	v_cmp_lt_i32_e64 s0, v18, v16
	s_and_not1_b32 s2, s2, exec_lo
	s_delay_alu instid0(VALU_DEP_1) | instskip(NEXT) | instid1(SALU_CYCLE_1)
	s_and_b32 s0, vcc_lo, s0
	s_and_b32 s0, s0, exec_lo
	s_delay_alu instid0(SALU_CYCLE_1)
	s_or_b32 s2, s2, s0
.LBB20_15:                              ;   in Loop: Header=BB20_13 Depth=1
	s_or_b32 exec_lo, exec_lo, s3
	s_delay_alu instid0(VALU_DEP_2)
	s_and_saveexec_b32 s0, s2
	s_cbranch_execz .LBB20_17
; %bb.16:                               ;   in Loop: Header=BB20_13 Depth=1
	s_waitcnt lgkmcnt(0)
	v_dual_mov_b32 v75, v17 :: v_dual_mov_b32 v16, v18
.LBB20_17:                              ;   in Loop: Header=BB20_13 Depth=1
	s_or_b32 exec_lo, exec_lo, s0
	s_waitcnt lgkmcnt(0)
	ds_bpermute_b32 v18, v71, v75
	ds_bpermute_b32 v17, v71, v16
	s_mov_b32 s3, exec_lo
	s_waitcnt lgkmcnt(1)
	v_cmp_lt_f32_e64 s2, v75, v18
	v_cmpx_nlt_f32_e32 v75, v18
	s_cbranch_execz .LBB20_19
; %bb.18:                               ;   in Loop: Header=BB20_13 Depth=1
	v_cmp_eq_f32_e32 vcc_lo, v75, v18
	s_waitcnt lgkmcnt(0)
	v_cmp_lt_i32_e64 s0, v17, v16
	s_and_not1_b32 s2, s2, exec_lo
	s_delay_alu instid0(VALU_DEP_1) | instskip(NEXT) | instid1(SALU_CYCLE_1)
	s_and_b32 s0, vcc_lo, s0
	s_and_b32 s0, s0, exec_lo
	s_delay_alu instid0(SALU_CYCLE_1)
	s_or_b32 s2, s2, s0
.LBB20_19:                              ;   in Loop: Header=BB20_13 Depth=1
	s_or_b32 exec_lo, exec_lo, s3
	s_delay_alu instid0(VALU_DEP_2)
	s_and_saveexec_b32 s0, s2
	s_cbranch_execz .LBB20_21
; %bb.20:                               ;   in Loop: Header=BB20_13 Depth=1
	s_waitcnt lgkmcnt(0)
	v_dual_mov_b32 v75, v18 :: v_dual_mov_b32 v16, v17
.LBB20_21:                              ;   in Loop: Header=BB20_13 Depth=1
	s_or_b32 exec_lo, exec_lo, s0
	ds_bpermute_b32 v18, v72, v75
	s_waitcnt lgkmcnt(1)
	ds_bpermute_b32 v17, v72, v16
	s_mov_b32 s3, exec_lo
	s_waitcnt lgkmcnt(1)
	v_cmp_lt_f32_e64 s2, v75, v18
	v_cmpx_nlt_f32_e32 v75, v18
	s_cbranch_execz .LBB20_23
; %bb.22:                               ;   in Loop: Header=BB20_13 Depth=1
	v_cmp_eq_f32_e32 vcc_lo, v75, v18
	s_waitcnt lgkmcnt(0)
	v_cmp_lt_i32_e64 s0, v17, v16
	s_and_not1_b32 s2, s2, exec_lo
	s_delay_alu instid0(VALU_DEP_1) | instskip(NEXT) | instid1(SALU_CYCLE_1)
	s_and_b32 s0, vcc_lo, s0
	s_and_b32 s0, s0, exec_lo
	s_delay_alu instid0(SALU_CYCLE_1)
	s_or_b32 s2, s2, s0
.LBB20_23:                              ;   in Loop: Header=BB20_13 Depth=1
	s_or_b32 exec_lo, exec_lo, s3
	s_delay_alu instid0(VALU_DEP_2)
	s_and_saveexec_b32 s0, s2
	s_cbranch_execz .LBB20_25
; %bb.24:                               ;   in Loop: Header=BB20_13 Depth=1
	s_waitcnt lgkmcnt(0)
	v_dual_mov_b32 v75, v18 :: v_dual_mov_b32 v16, v17
.LBB20_25:                              ;   in Loop: Header=BB20_13 Depth=1
	s_or_b32 exec_lo, exec_lo, s0
	ds_bpermute_b32 v18, v73, v75
	s_waitcnt lgkmcnt(1)
	ds_bpermute_b32 v17, v73, v16
	s_mov_b32 s3, exec_lo
	s_waitcnt lgkmcnt(1)
	v_cmp_lt_f32_e64 s2, v75, v18
	v_cmpx_nlt_f32_e32 v75, v18
	s_cbranch_execz .LBB20_27
; %bb.26:                               ;   in Loop: Header=BB20_13 Depth=1
	v_cmp_eq_f32_e32 vcc_lo, v75, v18
	s_waitcnt lgkmcnt(0)
	v_cmp_lt_i32_e64 s0, v17, v16
	s_and_not1_b32 s2, s2, exec_lo
	s_delay_alu instid0(VALU_DEP_1) | instskip(NEXT) | instid1(SALU_CYCLE_1)
	s_and_b32 s0, vcc_lo, s0
	s_and_b32 s0, s0, exec_lo
	s_delay_alu instid0(SALU_CYCLE_1)
	s_or_b32 s2, s2, s0
.LBB20_27:                              ;   in Loop: Header=BB20_13 Depth=1
	s_or_b32 exec_lo, exec_lo, s3
	s_delay_alu instid0(VALU_DEP_2)
	s_and_saveexec_b32 s0, s2
	s_cbranch_execz .LBB20_29
; %bb.28:                               ;   in Loop: Header=BB20_13 Depth=1
	s_waitcnt lgkmcnt(0)
	v_dual_mov_b32 v75, v18 :: v_dual_mov_b32 v16, v17
.LBB20_29:                              ;   in Loop: Header=BB20_13 Depth=1
	s_or_b32 exec_lo, exec_lo, s0
	s_waitcnt lgkmcnt(0)
	ds_bpermute_b32 v17, v74, v75
	ds_bpermute_b32 v18, v74, v16
	s_mov_b32 s3, exec_lo
	s_waitcnt lgkmcnt(1)
	v_cmp_lt_f32_e64 s2, v75, v17
	v_cmpx_nlt_f32_e32 v75, v17
	s_cbranch_execz .LBB20_31
; %bb.30:                               ;   in Loop: Header=BB20_13 Depth=1
	v_cmp_eq_f32_e32 vcc_lo, v75, v17
	s_waitcnt lgkmcnt(0)
	v_cmp_lt_i32_e64 s0, v18, v16
	s_and_not1_b32 s2, s2, exec_lo
	s_delay_alu instid0(VALU_DEP_1) | instskip(NEXT) | instid1(SALU_CYCLE_1)
	s_and_b32 s0, vcc_lo, s0
	s_and_b32 s0, s0, exec_lo
	s_delay_alu instid0(SALU_CYCLE_1)
	s_or_b32 s2, s2, s0
.LBB20_31:                              ;   in Loop: Header=BB20_13 Depth=1
	s_or_b32 exec_lo, exec_lo, s3
	s_delay_alu instid0(VALU_DEP_2)
	s_and_saveexec_b32 s0, s2
	s_cbranch_execz .LBB20_33
; %bb.32:                               ;   in Loop: Header=BB20_13 Depth=1
	s_waitcnt lgkmcnt(0)
	v_dual_mov_b32 v75, v17 :: v_dual_mov_b32 v16, v18
.LBB20_33:                              ;   in Loop: Header=BB20_13 Depth=1
	s_or_b32 exec_lo, exec_lo, s0
	s_delay_alu instid0(VALU_DEP_1) | instskip(NEXT) | instid1(VALU_DEP_1)
	v_and_b32_e32 v17, 31, v16
	v_cmp_eq_u32_e32 vcc_lo, v17, v36
	s_and_saveexec_b32 s2, vcc_lo
	s_cbranch_execz .LBB20_35
; %bb.34:                               ;   in Loop: Header=BB20_13 Depth=1
	v_ashrrev_i32_e32 v17, 31, v16
	s_delay_alu instid0(VALU_DEP_1) | instskip(NEXT) | instid1(VALU_DEP_1)
	v_lshrrev_b32_e32 v17, 27, v17
	v_add_nc_u32_e32 v17, v16, v17
	s_delay_alu instid0(VALU_DEP_1) | instskip(NEXT) | instid1(VALU_DEP_1)
	v_ashrrev_i32_e32 v17, 5, v17
	v_cmp_ne_u32_e64 s0, 15, v17
	s_delay_alu instid0(VALU_DEP_1) | instskip(SKIP_1) | instid1(VALU_DEP_1)
	v_cndmask_b32_e64 v69, 0xff800000, v69, s0
	v_cmp_ne_u32_e64 s0, 14, v17
	v_cndmask_b32_e64 v68, 0xff800000, v68, s0
	v_cmp_ne_u32_e64 s0, 13, v17
	s_delay_alu instid0(VALU_DEP_1) | instskip(SKIP_1) | instid1(VALU_DEP_1)
	v_cndmask_b32_e64 v67, 0xff800000, v67, s0
	v_cmp_ne_u32_e64 s0, 12, v17
	v_cndmask_b32_e64 v66, 0xff800000, v66, s0
	;; [unrolled: 5-line block ×8, first 2 shown]
.LBB20_35:                              ;   in Loop: Header=BB20_13 Depth=1
	s_or_b32 exec_lo, exec_lo, s2
	s_and_saveexec_b32 s0, vcc_lo
	s_cbranch_execz .LBB20_12
; %bb.36:                               ;   in Loop: Header=BB20_13 Depth=1
	v_add_f32_e32 v17, v65, v75
	global_store_b32 v[33:34], v16, off
	v_cndmask_b32_e64 v65, v65, v17, s20
	s_branch .LBB20_12
.LBB20_37:
	s_and_b32 vcc_lo, exec_lo, s20
	s_cbranch_vccz .LBB20_39
; %bb.38:
	s_delay_alu instid0(VALU_DEP_1) | instskip(SKIP_3) | instid1(VALU_DEP_3)
	v_xor_b32_e32 v16, 16, v54
	v_xor_b32_e32 v17, 8, v54
	s_waitcnt vmcnt(0)
	v_xor_b32_e32 v18, 4, v54
	v_cmp_gt_i32_e32 vcc_lo, 32, v16
	v_cndmask_b32_e32 v16, v54, v16, vcc_lo
	v_cmp_gt_i32_e32 vcc_lo, 32, v17
	v_cndmask_b32_e32 v17, v54, v17, vcc_lo
	v_cmp_gt_i32_e32 vcc_lo, 32, v18
	s_delay_alu instid0(VALU_DEP_2)
	v_lshlrev_b32_e32 v17, 2, v17
	v_lshlrev_b32_e32 v16, 2, v16
	v_cndmask_b32_e32 v18, v54, v18, vcc_lo
	ds_bpermute_b32 v16, v16, v65
	v_lshlrev_b32_e32 v18, 2, v18
	s_waitcnt lgkmcnt(0)
	v_add_f32_e32 v16, v65, v16
	ds_bpermute_b32 v17, v17, v16
	s_waitcnt lgkmcnt(0)
	v_add_f32_e32 v16, v16, v17
	ds_bpermute_b32 v17, v18, v16
	v_xor_b32_e32 v18, 2, v54
	s_delay_alu instid0(VALU_DEP_1) | instskip(SKIP_1) | instid1(VALU_DEP_1)
	v_cmp_gt_i32_e32 vcc_lo, 32, v18
	v_cndmask_b32_e32 v18, v54, v18, vcc_lo
	v_lshlrev_b32_e32 v18, 2, v18
	s_waitcnt lgkmcnt(0)
	v_add_f32_e32 v16, v16, v17
	ds_bpermute_b32 v17, v18, v16
	v_xor_b32_e32 v18, 1, v54
	s_delay_alu instid0(VALU_DEP_1) | instskip(SKIP_1) | instid1(VALU_DEP_1)
	v_cmp_gt_i32_e32 vcc_lo, 32, v18
	v_cndmask_b32_e32 v18, v54, v18, vcc_lo
	v_lshlrev_b32_e32 v18, 2, v18
	s_waitcnt lgkmcnt(0)
	v_add_f32_e32 v16, v16, v17
	ds_bpermute_b32 v17, v18, v16
	v_max_f32_e64 v18, s18, s18
	s_waitcnt lgkmcnt(0)
	v_add_f32_e32 v16, v16, v17
	s_delay_alu instid0(VALU_DEP_1) | instskip(NEXT) | instid1(VALU_DEP_1)
	v_max_f32_e32 v16, v16, v18
	v_div_scale_f32 v17, null, v16, v16, 1.0
	v_div_scale_f32 v20, vcc_lo, 1.0, v16, 1.0
	s_delay_alu instid0(VALU_DEP_2) | instskip(SKIP_2) | instid1(VALU_DEP_1)
	v_rcp_f32_e32 v18, v17
	s_waitcnt_depctr 0xfff
	v_fma_f32 v19, -v17, v18, 1.0
	v_fmac_f32_e32 v18, v19, v18
	s_delay_alu instid0(VALU_DEP_1) | instskip(NEXT) | instid1(VALU_DEP_1)
	v_mul_f32_e32 v19, v20, v18
	v_fma_f32 v21, -v17, v19, v20
	s_delay_alu instid0(VALU_DEP_1) | instskip(NEXT) | instid1(VALU_DEP_1)
	v_fmac_f32_e32 v19, v21, v18
	v_fma_f32 v17, -v17, v19, v20
	s_delay_alu instid0(VALU_DEP_1) | instskip(NEXT) | instid1(VALU_DEP_1)
	v_div_fmas_f32 v17, v17, v18, v19
	v_div_fixup_f32 v16, v17, v16, 1.0
	s_delay_alu instid0(VALU_DEP_1)
	v_mul_f32_e32 v13, v16, v13
	v_mul_f32_e32 v0, v16, v0
	;; [unrolled: 1-line block ×16, first 2 shown]
.LBB20_39:
	v_cmp_gt_i32_e64 s0, s17, v51
	v_cmp_gt_i32_e64 s1, s17, v50
	;; [unrolled: 1-line block ×16, first 2 shown]
	s_and_not1_b32 vcc_lo, exec_lo, s16
	s_cbranch_vccnz .LBB20_41
; %bb.40:
	v_dual_max_f32 v16, v0, v0 :: v_dual_max_f32 v17, v1, v1
	s_waitcnt vmcnt(0)
	v_max_f32_e32 v18, v2, v2
	s_delay_alu instid0(VALU_DEP_2) | instskip(NEXT) | instid1(VALU_DEP_1)
	v_max_f32_e32 v16, 0xff800000, v16
	v_cndmask_b32_e64 v16, 0xff800000, v16, s15
	s_delay_alu instid0(VALU_DEP_1) | instskip(NEXT) | instid1(VALU_DEP_1)
	v_max_f32_e32 v17, v16, v17
	v_cndmask_b32_e64 v16, v16, v17, s0
	s_delay_alu instid0(VALU_DEP_1) | instskip(NEXT) | instid1(VALU_DEP_1)
	v_dual_max_f32 v17, v16, v18 :: v_dual_max_f32 v18, v3, v3
	v_cndmask_b32_e64 v16, v16, v17, s1
	s_delay_alu instid0(VALU_DEP_1) | instskip(SKIP_1) | instid1(VALU_DEP_2)
	v_max_f32_e32 v17, v16, v18
	v_max_f32_e32 v18, v4, v4
	v_cndmask_b32_e64 v16, v16, v17, s2
	s_delay_alu instid0(VALU_DEP_1) | instskip(NEXT) | instid1(VALU_DEP_1)
	v_max_f32_e32 v17, v16, v18
	v_cndmask_b32_e64 v16, v16, v17, s3
	s_delay_alu instid0(VALU_DEP_1) | instskip(NEXT) | instid1(VALU_DEP_1)
	v_dual_max_f32 v17, v5, v5 :: v_dual_max_f32 v18, v16, v16
	v_max_f32_e32 v17, v18, v17
	s_delay_alu instid0(VALU_DEP_1) | instskip(NEXT) | instid1(VALU_DEP_1)
	v_cndmask_b32_e64 v16, v16, v17, s4
	v_dual_max_f32 v17, v6, v6 :: v_dual_max_f32 v18, v16, v16
	s_delay_alu instid0(VALU_DEP_1) | instskip(NEXT) | instid1(VALU_DEP_1)
	v_max_f32_e32 v17, v18, v17
	v_cndmask_b32_e64 v16, v16, v17, s5
	s_delay_alu instid0(VALU_DEP_1) | instskip(NEXT) | instid1(VALU_DEP_1)
	v_dual_max_f32 v17, v7, v7 :: v_dual_max_f32 v18, v16, v16
	v_max_f32_e32 v17, v18, v17
	s_delay_alu instid0(VALU_DEP_1) | instskip(SKIP_1) | instid1(VALU_DEP_2)
	v_cndmask_b32_e64 v16, v16, v17, s6
	v_max_f32_e32 v17, v8, v8
	v_max_f32_e32 v18, v16, v16
	s_delay_alu instid0(VALU_DEP_1) | instskip(NEXT) | instid1(VALU_DEP_1)
	v_max_f32_e32 v17, v18, v17
	v_cndmask_b32_e64 v16, v16, v17, s7
	s_delay_alu instid0(VALU_DEP_1) | instskip(NEXT) | instid1(VALU_DEP_1)
	v_dual_max_f32 v17, v9, v9 :: v_dual_max_f32 v18, v16, v16
	v_max_f32_e32 v17, v18, v17
	s_delay_alu instid0(VALU_DEP_1) | instskip(NEXT) | instid1(VALU_DEP_1)
	v_cndmask_b32_e64 v16, v16, v17, s8
	v_dual_max_f32 v17, v10, v10 :: v_dual_max_f32 v18, v16, v16
	s_delay_alu instid0(VALU_DEP_1) | instskip(NEXT) | instid1(VALU_DEP_1)
	v_max_f32_e32 v17, v18, v17
	v_cndmask_b32_e64 v16, v16, v17, s9
	s_delay_alu instid0(VALU_DEP_1) | instskip(NEXT) | instid1(VALU_DEP_1)
	v_dual_max_f32 v17, v11, v11 :: v_dual_max_f32 v18, v16, v16
	v_max_f32_e32 v17, v18, v17
	s_delay_alu instid0(VALU_DEP_1) | instskip(SKIP_1) | instid1(VALU_DEP_2)
	v_cndmask_b32_e64 v16, v16, v17, s10
	v_max_f32_e32 v17, v12, v12
	v_max_f32_e32 v18, v16, v16
	s_delay_alu instid0(VALU_DEP_1) | instskip(NEXT) | instid1(VALU_DEP_1)
	v_max_f32_e32 v17, v18, v17
	v_cndmask_b32_e64 v16, v16, v17, s11
	s_delay_alu instid0(VALU_DEP_1) | instskip(NEXT) | instid1(VALU_DEP_1)
	v_dual_max_f32 v17, v13, v13 :: v_dual_max_f32 v18, v16, v16
	v_max_f32_e32 v17, v18, v17
	s_delay_alu instid0(VALU_DEP_1) | instskip(NEXT) | instid1(VALU_DEP_1)
	v_cndmask_b32_e64 v16, v16, v17, s12
	v_dual_max_f32 v17, v14, v14 :: v_dual_max_f32 v18, v16, v16
	s_delay_alu instid0(VALU_DEP_1) | instskip(NEXT) | instid1(VALU_DEP_1)
	v_dual_max_f32 v17, v18, v17 :: v_dual_max_f32 v18, v15, v15
	v_cndmask_b32_e64 v17, v16, v17, s13
	v_xor_b32_e32 v16, 16, v54
	s_delay_alu instid0(VALU_DEP_2) | instskip(NEXT) | instid1(VALU_DEP_2)
	v_max_f32_e32 v19, v17, v17
	v_cmp_gt_i32_e32 vcc_lo, 32, v16
	s_delay_alu instid0(VALU_DEP_2) | instskip(SKIP_2) | instid1(VALU_DEP_3)
	v_max_f32_e32 v18, v19, v18
	v_cndmask_b32_e32 v16, v54, v16, vcc_lo
	v_xor_b32_e32 v19, 8, v54
	v_cndmask_b32_e64 v17, v17, v18, s14
	s_delay_alu instid0(VALU_DEP_3) | instskip(NEXT) | instid1(VALU_DEP_3)
	v_lshlrev_b32_e32 v16, 2, v16
	v_cmp_gt_i32_e32 vcc_lo, 32, v19
	s_delay_alu instid0(VALU_DEP_3) | instskip(SKIP_3) | instid1(VALU_DEP_1)
	v_max_f32_e32 v20, v17, v17
	ds_bpermute_b32 v18, v16, v17
	v_cndmask_b32_e32 v19, v54, v19, vcc_lo
	s_waitcnt lgkmcnt(0)
	v_dual_max_f32 v18, v18, v18 :: v_dual_lshlrev_b32 v17, 2, v19
	s_delay_alu instid0(VALU_DEP_1)
	v_max_f32_e32 v19, v20, v18
	v_xor_b32_e32 v20, 4, v54
	ds_bpermute_b32 v18, v17, v19
	v_cmp_gt_i32_e32 vcc_lo, 32, v20
	v_cndmask_b32_e32 v20, v54, v20, vcc_lo
	s_waitcnt lgkmcnt(0)
	s_delay_alu instid0(VALU_DEP_1) | instskip(NEXT) | instid1(VALU_DEP_1)
	v_dual_max_f32 v21, v18, v18 :: v_dual_lshlrev_b32 v18, 2, v20
	v_max_f32_e32 v20, v19, v21
	v_xor_b32_e32 v21, 2, v54
	ds_bpermute_b32 v19, v18, v20
	v_cmp_gt_i32_e32 vcc_lo, 32, v21
	s_waitcnt lgkmcnt(0)
	v_dual_cndmask_b32 v21, v54, v21 :: v_dual_max_f32 v22, v19, v19
	s_delay_alu instid0(VALU_DEP_1) | instskip(NEXT) | instid1(VALU_DEP_2)
	v_lshlrev_b32_e32 v19, 2, v21
	v_max_f32_e32 v21, v20, v22
	v_xor_b32_e32 v22, 1, v54
	ds_bpermute_b32 v20, v19, v21
	v_cmp_gt_i32_e32 vcc_lo, 32, v22
	s_waitcnt lgkmcnt(0)
	v_dual_cndmask_b32 v22, v54, v22 :: v_dual_max_f32 v23, v20, v20
	s_delay_alu instid0(VALU_DEP_1) | instskip(SKIP_3) | instid1(VALU_DEP_1)
	v_dual_max_f32 v21, v21, v23 :: v_dual_lshlrev_b32 v20, 2, v22
	ds_bpermute_b32 v22, v20, v21
	s_waitcnt lgkmcnt(0)
	v_max_f32_e32 v22, v22, v22
	v_max_f32_e32 v21, v21, v22
	s_delay_alu instid0(VALU_DEP_1) | instskip(NEXT) | instid1(VALU_DEP_1)
	v_sub_f32_e32 v12, v12, v21
	v_dual_mul_f32 v34, 0x3fb8aa3b, v12 :: v_dual_sub_f32 v15, v15, v21
	v_sub_f32_e32 v1, v1, v21
	v_sub_f32_e32 v6, v6, v21
	;; [unrolled: 1-line block ×4, first 2 shown]
	v_mul_f32_e32 v54, 0x3fb8aa3b, v15
	s_delay_alu instid0(VALU_DEP_4) | instskip(NEXT) | instid1(VALU_DEP_4)
	v_dual_mul_f32 v22, 0x3fb8aa3b, v1 :: v_dual_mul_f32 v27, 0x3fb8aa3b, v6
	v_dual_sub_f32 v14, v14, v21 :: v_dual_mul_f32 v31, 0x3fb8aa3b, v10
	s_delay_alu instid0(VALU_DEP_4) | instskip(NEXT) | instid1(VALU_DEP_3)
	v_dual_sub_f32 v0, v0, v21 :: v_dual_mul_f32 v23, 0x3fb8aa3b, v2
	v_rndne_f32_e32 v58, v22
	v_sub_f32_e32 v3, v3, v21
	v_fma_f32 v57, 0x3fb8aa3b, v1, -v22
	v_sub_f32_e32 v4, v4, v21
	v_sub_f32_e32 v8, v8, v21
	;; [unrolled: 1-line block ×3, first 2 shown]
	v_mul_f32_e32 v24, 0x3fb8aa3b, v3
	v_fmac_f32_e32 v57, 0x32a5705f, v1
	v_mul_f32_e32 v53, 0x3fb8aa3b, v14
	v_cvt_i32_f32_e32 v58, v58
	v_cmp_ngt_f32_e32 vcc_lo, 0xc2ce8ed0, v0
	v_rndne_f32_e32 v62, v24
	v_add_f32_e32 v22, v22, v57
	v_sub_f32_e32 v5, v5, v21
	v_fma_f32 v61, 0x3fb8aa3b, v3, -v24
	v_fma_f32 v59, 0x3fb8aa3b, v2, -v23
	v_sub_f32_e32 v24, v24, v62
	v_exp_f32_e32 v22, v22
	v_mul_f32_e32 v26, 0x3fb8aa3b, v5
	v_fmac_f32_e32 v61, 0x32a5705f, v3
	v_rndne_f32_e32 v60, v23
	v_rndne_f32_e32 v80, v34
	v_fmac_f32_e32 v59, 0x32a5705f, v2
	v_rndne_f32_e32 v66, v26
	v_sub_f32_e32 v7, v7, v21
	v_fma_f32 v65, 0x3fb8aa3b, v5, -v26
	v_rndne_f32_e32 v84, v53
	v_ldexp_f32 v22, v22, v58
	v_sub_f32_e32 v26, v26, v66
	v_dual_mul_f32 v28, 0x3fb8aa3b, v7 :: v_dual_sub_f32 v13, v13, v21
	v_fma_f32 v83, 0x3fb8aa3b, v14, -v53
	v_cvt_i32_f32_e32 v62, v62
	v_cvt_i32_f32_e32 v66, v66
	s_delay_alu instid0(VALU_DEP_4)
	v_rndne_f32_e32 v70, v28
	v_sub_f32_e32 v9, v9, v21
	v_fma_f32 v69, 0x3fb8aa3b, v7, -v28
	v_fmac_f32_e32 v83, 0x32a5705f, v14
	v_fma_f32 v67, 0x3fb8aa3b, v6, -v27
	v_sub_f32_e32 v28, v28, v70
	v_mul_f32_e32 v30, 0x3fb8aa3b, v9
	v_rndne_f32_e32 v68, v27
	v_cvt_i32_f32_e32 v70, v70
	v_fma_f32 v75, 0x3fb8aa3b, v10, -v31
	v_rndne_f32_e32 v76, v31
	v_rndne_f32_e32 v74, v30
	v_sub_f32_e32 v11, v11, v21
	v_dual_mul_f32 v21, 0x3fb8aa3b, v0 :: v_dual_add_f32 v24, v24, v61
	v_mul_f32_e32 v25, 0x3fb8aa3b, v4
	v_fma_f32 v73, 0x3fb8aa3b, v9, -v30
	v_sub_f32_e32 v30, v30, v74
	s_delay_alu instid0(VALU_DEP_4)
	v_fma_f32 v55, 0x3fb8aa3b, v0, -v21
	v_rndne_f32_e32 v56, v21
	v_fma_f32 v63, 0x3fb8aa3b, v4, -v25
	v_rndne_f32_e32 v64, v25
	v_sub_f32_e32 v27, v27, v68
	v_fmac_f32_e32 v55, 0x32a5705f, v0
	v_sub_f32_e32 v21, v21, v56
	v_cvt_i32_f32_e32 v56, v56
	v_sub_f32_e32 v25, v25, v64
	v_cvt_i32_f32_e32 v64, v64
	v_cvt_i32_f32_e32 v68, v68
	v_add_f32_e32 v21, v21, v55
	v_mul_f32_e32 v29, 0x3fb8aa3b, v8
	v_fmac_f32_e32 v75, 0x32a5705f, v10
	v_sub_f32_e32 v31, v31, v76
	v_cvt_i32_f32_e32 v57, v74
	v_exp_f32_e32 v21, v21
	v_fma_f32 v71, 0x3fb8aa3b, v8, -v29
	v_rndne_f32_e32 v72, v29
	v_fma_f32 v79, 0x3fb8aa3b, v12, -v34
	v_rndne_f32_e32 v86, v54
	s_delay_alu instid0(VALU_DEP_4) | instskip(NEXT) | instid1(VALU_DEP_4)
	v_fmac_f32_e32 v71, 0x32a5705f, v8
	v_sub_f32_e32 v29, v29, v72
	v_cvt_i32_f32_e32 v55, v72
	v_fmac_f32_e32 v79, 0x32a5705f, v12
	s_delay_alu instid0(TRANS32_DEP_1) | instskip(NEXT) | instid1(VALU_DEP_1)
	v_ldexp_f32 v21, v21, v56
	v_cndmask_b32_e32 v21, 0, v21, vcc_lo
	v_cmp_ngt_f32_e32 vcc_lo, 0xc2ce8ed0, v1
	v_cndmask_b32_e32 v22, 0, v22, vcc_lo
	v_cmp_nlt_f32_e32 vcc_lo, 0x42b17218, v0
	v_sub_f32_e32 v23, v23, v60
	v_dual_mul_f32 v33, 0x3fb8aa3b, v11 :: v_dual_mul_f32 v52, 0x3fb8aa3b, v13
	v_cvt_i32_f32_e32 v60, v60
	s_delay_alu instid0(VALU_DEP_3) | instskip(SKIP_1) | instid1(VALU_DEP_4)
	v_dual_cndmask_b32 v0, 0x7f800000, v21 :: v_dual_add_f32 v23, v23, v59
	v_cmp_nlt_f32_e32 vcc_lo, 0x42b17218, v1
	v_rndne_f32_e32 v82, v52
	v_fmac_f32_e32 v69, 0x32a5705f, v7
	v_fmac_f32_e32 v63, 0x32a5705f, v4
	v_exp_f32_e32 v23, v23
	v_exp_f32_e32 v21, v24
	v_cndmask_b32_e32 v1, 0x7f800000, v22, vcc_lo
	v_cmp_ngt_f32_e32 vcc_lo, 0xc2ce8ed0, v2
	v_add_f32_e32 v22, v25, v63
	v_cndmask_b32_e64 v0, 0, v0, s15
	v_cvt_i32_f32_e32 v59, v76
	v_fma_f32 v77, 0x3fb8aa3b, v11, -v33
	v_rndne_f32_e32 v78, v33
	v_exp_f32_e32 v22, v22
	v_ldexp_f32 v23, v23, v60
	v_ldexp_f32 v21, v21, v62
	v_add_f32_e32 v25, v1, v0
	v_fma_f32 v81, 0x3fb8aa3b, v13, -v52
	v_cvt_i32_f32_e32 v24, v78
	v_cndmask_b32_e32 v23, 0, v23, vcc_lo
	v_cmp_nlt_f32_e32 vcc_lo, 0x42b17218, v2
	v_fma_f32 v85, 0x3fb8aa3b, v15, -v54
	v_fmac_f32_e32 v81, 0x32a5705f, v13
	v_ldexp_f32 v22, v22, v64
	v_cndmask_b32_e32 v2, 0x7f800000, v23, vcc_lo
	v_cmp_ngt_f32_e32 vcc_lo, 0xc2ce8ed0, v3
	v_cndmask_b32_e64 v23, v0, v25, s0
	v_fmac_f32_e32 v85, 0x32a5705f, v15
	v_cndmask_b32_e32 v21, 0, v21, vcc_lo
	v_cmp_nlt_f32_e32 vcc_lo, 0x42b17218, v3
	s_delay_alu instid0(VALU_DEP_2) | instskip(SKIP_3) | instid1(VALU_DEP_2)
	v_cndmask_b32_e32 v3, 0x7f800000, v21, vcc_lo
	v_cmp_ngt_f32_e32 vcc_lo, 0xc2ce8ed0, v4
	v_cndmask_b32_e32 v22, 0, v22, vcc_lo
	v_cmp_nlt_f32_e32 vcc_lo, 0x42b17218, v4
	v_cndmask_b32_e32 v4, 0x7f800000, v22, vcc_lo
	v_fmac_f32_e32 v65, 0x32a5705f, v5
	v_cmp_ngt_f32_e32 vcc_lo, 0xc2ce8ed0, v5
	v_add_f32_e32 v22, v28, v69
	s_delay_alu instid0(VALU_DEP_3) | instskip(NEXT) | instid1(VALU_DEP_2)
	v_dual_add_f32 v25, v26, v65 :: v_dual_add_f32 v26, v23, v2
	v_exp_f32_e32 v22, v22
	v_cndmask_b32_e64 v2, 0, v2, s1
	s_delay_alu instid0(VALU_DEP_2) | instskip(NEXT) | instid1(VALU_DEP_2)
	v_exp_f32_e32 v25, v25
	v_cndmask_b32_e64 v21, v23, v26, s1
	v_sub_f32_e32 v26, v34, v80
	s_waitcnt_depctr 0xfff
	v_ldexp_f32 v22, v22, v70
	v_ldexp_f32 v25, v25, v66
	s_delay_alu instid0(VALU_DEP_1) | instskip(SKIP_1) | instid1(VALU_DEP_2)
	v_cndmask_b32_e32 v25, 0, v25, vcc_lo
	v_cmp_nlt_f32_e32 vcc_lo, 0x42b17218, v5
	v_cndmask_b32_e32 v5, 0x7f800000, v25, vcc_lo
	v_fmac_f32_e32 v67, 0x32a5705f, v6
	v_cmp_ngt_f32_e32 vcc_lo, 0xc2ce8ed0, v6
	s_delay_alu instid0(VALU_DEP_2) | instskip(SKIP_1) | instid1(VALU_DEP_2)
	v_add_f32_e32 v23, v27, v67
	v_add_f32_e32 v27, v21, v3
	v_exp_f32_e32 v23, v23
	s_delay_alu instid0(VALU_DEP_1) | instskip(SKIP_1) | instid1(VALU_DEP_2)
	v_cndmask_b32_e64 v21, v21, v27, s2
	v_cvt_i32_f32_e32 v27, v80
	v_add_f32_e32 v28, v21, v4
	v_cndmask_b32_e64 v4, 0, v4, s3
	s_waitcnt_depctr 0xfff
	v_ldexp_f32 v23, v23, v68
	v_cndmask_b32_e64 v21, v21, v28, s3
	s_delay_alu instid0(VALU_DEP_2) | instskip(SKIP_1) | instid1(VALU_DEP_3)
	v_cndmask_b32_e32 v23, 0, v23, vcc_lo
	v_cmp_nlt_f32_e32 vcc_lo, 0x42b17218, v6
	v_add_f32_e32 v28, v21, v5
	s_delay_alu instid0(VALU_DEP_3) | instskip(SKIP_1) | instid1(VALU_DEP_3)
	v_cndmask_b32_e32 v6, 0x7f800000, v23, vcc_lo
	v_cmp_ngt_f32_e32 vcc_lo, 0xc2ce8ed0, v7
	v_cndmask_b32_e64 v21, v21, v28, s4
	v_sub_f32_e32 v28, v52, v82
	v_sub_f32_e32 v33, v33, v78
	v_cndmask_b32_e32 v22, 0, v22, vcc_lo
	v_cmp_nlt_f32_e32 vcc_lo, 0x42b17218, v7
	s_delay_alu instid0(VALU_DEP_2)
	v_dual_cndmask_b32 v7, 0x7f800000, v22 :: v_dual_add_f32 v22, v31, v75
	v_add_f32_e32 v25, v29, v71
	v_add_f32_e32 v29, v21, v6
	v_cmp_ngt_f32_e32 vcc_lo, 0xc2ce8ed0, v8
	v_cndmask_b32_e64 v6, 0, v6, s5
	v_exp_f32_e32 v22, v22
	v_exp_f32_e32 v25, v25
	v_cndmask_b32_e64 v21, v21, v29, s5
	v_fmac_f32_e32 v73, 0x32a5705f, v9
	v_cvt_i32_f32_e32 v29, v82
	s_delay_alu instid0(VALU_DEP_2)
	v_dual_add_f32 v23, v30, v73 :: v_dual_add_f32 v30, v21, v7
	s_waitcnt_depctr 0xfff
	v_ldexp_f32 v22, v22, v59
	v_ldexp_f32 v25, v25, v55
	v_exp_f32_e32 v23, v23
	v_cndmask_b32_e64 v21, v21, v30, s6
	s_delay_alu instid0(VALU_DEP_2) | instskip(SKIP_1) | instid1(VALU_DEP_2)
	v_cndmask_b32_e32 v25, 0, v25, vcc_lo
	v_cmp_nlt_f32_e32 vcc_lo, 0x42b17218, v8
	v_cndmask_b32_e32 v8, 0x7f800000, v25, vcc_lo
	s_waitcnt_depctr 0xfff
	v_ldexp_f32 v23, v23, v57
	v_cmp_ngt_f32_e32 vcc_lo, 0xc2ce8ed0, v9
	v_add_f32_e32 v30, v21, v8
	v_cndmask_b32_e64 v8, 0, v8, s7
	s_delay_alu instid0(VALU_DEP_4) | instskip(SKIP_1) | instid1(VALU_DEP_4)
	v_cndmask_b32_e32 v23, 0, v23, vcc_lo
	v_cmp_nlt_f32_e32 vcc_lo, 0x42b17218, v9
	v_cndmask_b32_e64 v21, v21, v30, s7
	s_delay_alu instid0(VALU_DEP_3) | instskip(SKIP_3) | instid1(VALU_DEP_4)
	v_cndmask_b32_e32 v9, 0x7f800000, v23, vcc_lo
	v_cmp_ngt_f32_e32 vcc_lo, 0xc2ce8ed0, v10
	v_fmac_f32_e32 v77, 0x32a5705f, v11
	v_dual_add_f32 v23, v26, v79 :: v_dual_sub_f32 v26, v53, v84
	v_add_f32_e32 v30, v21, v9
	v_cndmask_b32_e32 v22, 0, v22, vcc_lo
	v_cmp_nlt_f32_e32 vcc_lo, 0x42b17218, v10
	s_delay_alu instid0(VALU_DEP_4) | instskip(NEXT) | instid1(VALU_DEP_3)
	v_exp_f32_e32 v23, v23
	v_cndmask_b32_e64 v21, v21, v30, s8
	s_delay_alu instid0(VALU_DEP_3) | instskip(SKIP_3) | instid1(VALU_DEP_3)
	v_cndmask_b32_e32 v10, 0x7f800000, v22, vcc_lo
	v_add_f32_e32 v22, v28, v81
	v_add_f32_e32 v25, v33, v77
	v_cmp_ngt_f32_e32 vcc_lo, 0xc2ce8ed0, v11
	v_exp_f32_e32 v22, v22
	s_delay_alu instid0(VALU_DEP_2) | instskip(NEXT) | instid1(TRANS32_DEP_3)
	v_exp_f32_e32 v25, v25
	v_ldexp_f32 v23, v23, v27
	s_waitcnt_depctr 0xfff
	v_ldexp_f32 v22, v22, v29
	v_ldexp_f32 v24, v25, v24
	v_add_f32_e32 v25, v21, v10
	v_cndmask_b32_e64 v10, 0, v10, s9
	s_delay_alu instid0(VALU_DEP_3) | instskip(SKIP_1) | instid1(VALU_DEP_4)
	v_cndmask_b32_e32 v24, 0, v24, vcc_lo
	v_cmp_nlt_f32_e32 vcc_lo, 0x42b17218, v11
	v_cndmask_b32_e64 v21, v21, v25, s9
	v_sub_f32_e32 v25, v54, v86
	s_delay_alu instid0(VALU_DEP_4) | instskip(SKIP_3) | instid1(VALU_DEP_4)
	v_cndmask_b32_e32 v11, 0x7f800000, v24, vcc_lo
	v_cmp_ngt_f32_e32 vcc_lo, 0xc2ce8ed0, v12
	v_add_f32_e32 v24, v26, v83
	v_cndmask_b32_e64 v1, 0, v1, s0
	v_add_f32_e32 v26, v21, v11
	v_cndmask_b32_e32 v23, 0, v23, vcc_lo
	v_cmp_nlt_f32_e32 vcc_lo, 0x42b17218, v12
	v_exp_f32_e32 v24, v24
	v_cndmask_b32_e64 v11, 0, v11, s10
	v_cndmask_b32_e64 v21, v21, v26, s10
	v_cndmask_b32_e32 v12, 0x7f800000, v23, vcc_lo
	v_cmp_ngt_f32_e32 vcc_lo, 0xc2ce8ed0, v13
	v_add_f32_e32 v23, v25, v85
	v_cvt_i32_f32_e32 v25, v84
	s_delay_alu instid0(VALU_DEP_4)
	v_add_f32_e32 v26, v21, v12
	v_cndmask_b32_e32 v22, 0, v22, vcc_lo
	v_cmp_nlt_f32_e32 vcc_lo, 0x42b17218, v13
	v_exp_f32_e32 v23, v23
	v_ldexp_f32 v24, v24, v25
	v_cndmask_b32_e64 v21, v21, v26, s11
	v_cndmask_b32_e64 v3, 0, v3, s2
	v_cndmask_b32_e32 v13, 0x7f800000, v22, vcc_lo
	v_cmp_ngt_f32_e32 vcc_lo, 0xc2ce8ed0, v14
	v_cvt_i32_f32_e32 v22, v86
	v_cndmask_b32_e64 v12, 0, v12, s11
	s_delay_alu instid0(VALU_DEP_4) | instskip(SKIP_1) | instid1(VALU_DEP_4)
	v_dual_add_f32 v25, v21, v13 :: v_dual_cndmask_b32 v24, 0, v24
	v_cmp_nlt_f32_e32 vcc_lo, 0x42b17218, v14
	v_ldexp_f32 v22, v23, v22
	v_cndmask_b32_e64 v13, 0, v13, s12
	s_delay_alu instid0(VALU_DEP_4) | instskip(SKIP_2) | instid1(VALU_DEP_2)
	v_cndmask_b32_e64 v21, v21, v25, s12
	v_cndmask_b32_e32 v14, 0x7f800000, v24, vcc_lo
	v_cmp_ngt_f32_e32 vcc_lo, 0xc2ce8ed0, v15
	v_add_f32_e32 v23, v21, v14
	v_cndmask_b32_e32 v22, 0, v22, vcc_lo
	v_cmp_nlt_f32_e32 vcc_lo, 0x42b17218, v15
	v_cndmask_b32_e64 v14, 0, v14, s13
	s_delay_alu instid0(VALU_DEP_4) | instskip(NEXT) | instid1(VALU_DEP_4)
	v_cndmask_b32_e64 v21, v21, v23, s13
	v_cndmask_b32_e32 v15, 0x7f800000, v22, vcc_lo
	s_delay_alu instid0(VALU_DEP_1) | instskip(SKIP_1) | instid1(VALU_DEP_2)
	v_add_f32_e32 v22, v21, v15
	v_cndmask_b32_e64 v15, 0, v15, s14
	v_cndmask_b32_e64 v21, v21, v22, s14
	ds_bpermute_b32 v16, v16, v21
	s_waitcnt lgkmcnt(0)
	v_add_f32_e32 v16, v21, v16
	v_cndmask_b32_e64 v5, 0, v5, s4
	ds_bpermute_b32 v17, v17, v16
	s_waitcnt lgkmcnt(0)
	v_add_f32_e32 v16, v16, v17
	ds_bpermute_b32 v17, v18, v16
	s_waitcnt lgkmcnt(0)
	v_add_f32_e32 v16, v16, v17
	;; [unrolled: 3-line block ×4, first 2 shown]
	v_cndmask_b32_e64 v7, 0, v7, s6
	s_delay_alu instid0(VALU_DEP_2) | instskip(SKIP_1) | instid1(VALU_DEP_2)
	v_div_scale_f32 v17, null, v16, v16, 1.0
	v_div_scale_f32 v20, vcc_lo, 1.0, v16, 1.0
	v_rcp_f32_e32 v18, v17
	s_waitcnt_depctr 0xfff
	v_fma_f32 v19, -v17, v18, 1.0
	s_delay_alu instid0(VALU_DEP_1) | instskip(NEXT) | instid1(VALU_DEP_1)
	v_fmac_f32_e32 v18, v19, v18
	v_mul_f32_e32 v19, v20, v18
	s_delay_alu instid0(VALU_DEP_1) | instskip(NEXT) | instid1(VALU_DEP_1)
	v_fma_f32 v21, -v17, v19, v20
	v_fmac_f32_e32 v19, v21, v18
	s_delay_alu instid0(VALU_DEP_1) | instskip(NEXT) | instid1(VALU_DEP_1)
	v_fma_f32 v17, -v17, v19, v20
	v_div_fmas_f32 v17, v17, v18, v19
	s_delay_alu instid0(VALU_DEP_1) | instskip(NEXT) | instid1(VALU_DEP_1)
	v_div_fixup_f32 v16, v17, v16, 1.0
	v_mul_f32_e32 v24, v7, v16
	v_mul_f32_e32 v28, v11, v16
	v_cndmask_b32_e64 v9, 0, v9, s8
	v_mul_f32_e32 v17, v0, v16
	v_mul_f32_e32 v18, v1, v16
	;; [unrolled: 1-line block ×14, first 2 shown]
	v_cndmask_b32_e64 v0, v0, v17, s15
	v_cndmask_b32_e64 v1, v1, v18, s0
	;; [unrolled: 1-line block ×16, first 2 shown]
.LBB20_41:
	v_mul_lo_u32 v16, v32, s17
	s_mov_b32 s0, exec_lo
	s_delay_alu instid0(VALU_DEP_1) | instskip(NEXT) | instid1(VALU_DEP_1)
	v_ashrrev_i32_e32 v17, 31, v16
	v_lshlrev_b64 v[16:17], 2, v[16:17]
	s_delay_alu instid0(VALU_DEP_1) | instskip(NEXT) | instid1(VALU_DEP_2)
	v_add_co_u32 v16, vcc_lo, s22, v16
	v_add_co_ci_u32_e32 v17, vcc_lo, s23, v17, vcc_lo
	v_cmpx_gt_i32_e64 s17, v36
	s_cbranch_execnz .LBB20_59
; %bb.42:
	s_or_b32 exec_lo, exec_lo, s0
	s_delay_alu instid0(SALU_CYCLE_1)
	s_mov_b32 s0, exec_lo
	v_cmpx_gt_i32_e64 s17, v51
	s_cbranch_execnz .LBB20_60
.LBB20_43:
	s_or_b32 exec_lo, exec_lo, s0
	s_delay_alu instid0(SALU_CYCLE_1)
	s_mov_b32 s0, exec_lo
	v_cmpx_gt_i32_e64 s17, v50
	s_cbranch_execnz .LBB20_61
.LBB20_44:
	s_or_b32 exec_lo, exec_lo, s0
	s_delay_alu instid0(SALU_CYCLE_1)
	s_mov_b32 s0, exec_lo
	v_cmpx_gt_i32_e64 s17, v49
	s_cbranch_execnz .LBB20_62
.LBB20_45:
	s_or_b32 exec_lo, exec_lo, s0
	s_delay_alu instid0(SALU_CYCLE_1)
	s_mov_b32 s0, exec_lo
	v_cmpx_gt_i32_e64 s17, v48
	s_cbranch_execnz .LBB20_63
.LBB20_46:
	s_or_b32 exec_lo, exec_lo, s0
	s_delay_alu instid0(SALU_CYCLE_1)
	s_mov_b32 s0, exec_lo
	v_cmpx_gt_i32_e64 s17, v47
	s_cbranch_execnz .LBB20_64
.LBB20_47:
	s_or_b32 exec_lo, exec_lo, s0
	s_delay_alu instid0(SALU_CYCLE_1)
	s_mov_b32 s0, exec_lo
	v_cmpx_gt_i32_e64 s17, v46
	s_cbranch_execnz .LBB20_65
.LBB20_48:
	s_or_b32 exec_lo, exec_lo, s0
	s_delay_alu instid0(SALU_CYCLE_1)
	s_mov_b32 s0, exec_lo
	v_cmpx_gt_i32_e64 s17, v45
	s_cbranch_execnz .LBB20_66
.LBB20_49:
	s_or_b32 exec_lo, exec_lo, s0
	s_delay_alu instid0(SALU_CYCLE_1)
	s_mov_b32 s0, exec_lo
	v_cmpx_gt_i32_e64 s17, v44
	s_cbranch_execnz .LBB20_67
.LBB20_50:
	s_or_b32 exec_lo, exec_lo, s0
	s_delay_alu instid0(SALU_CYCLE_1)
	s_mov_b32 s0, exec_lo
	v_cmpx_gt_i32_e64 s17, v43
	s_cbranch_execnz .LBB20_68
.LBB20_51:
	s_or_b32 exec_lo, exec_lo, s0
	s_delay_alu instid0(SALU_CYCLE_1)
	s_mov_b32 s0, exec_lo
	v_cmpx_gt_i32_e64 s17, v42
	s_cbranch_execnz .LBB20_69
.LBB20_52:
	s_or_b32 exec_lo, exec_lo, s0
	s_delay_alu instid0(SALU_CYCLE_1)
	s_mov_b32 s0, exec_lo
	v_cmpx_gt_i32_e64 s17, v41
	s_cbranch_execnz .LBB20_70
.LBB20_53:
	s_or_b32 exec_lo, exec_lo, s0
	s_delay_alu instid0(SALU_CYCLE_1)
	s_mov_b32 s0, exec_lo
	v_cmpx_gt_i32_e64 s17, v40
	s_cbranch_execnz .LBB20_71
.LBB20_54:
	s_or_b32 exec_lo, exec_lo, s0
	s_delay_alu instid0(SALU_CYCLE_1)
	s_mov_b32 s0, exec_lo
	v_cmpx_gt_i32_e64 s17, v39
	s_cbranch_execnz .LBB20_72
.LBB20_55:
	s_or_b32 exec_lo, exec_lo, s0
	s_delay_alu instid0(SALU_CYCLE_1)
	s_mov_b32 s0, exec_lo
	v_cmpx_gt_i32_e64 s17, v38
	s_cbranch_execnz .LBB20_73
.LBB20_56:
	s_or_b32 exec_lo, exec_lo, s0
	v_cmp_gt_i32_e32 vcc_lo, s17, v37
	s_and_b32 exec_lo, exec_lo, vcc_lo
	s_cbranch_execz .LBB20_58
.LBB20_57:
	v_add_co_u32 v0, vcc_lo, v16, v35
	v_add_co_ci_u32_e32 v1, vcc_lo, 0, v17, vcc_lo
	v_mul_f32_e32 v2, s19, v15
	global_store_b32 v[0:1], v2, off offset:1920
.LBB20_58:
	s_nop 0
	s_sendmsg sendmsg(MSG_DEALLOC_VGPRS)
	s_endpgm
.LBB20_59:
	s_waitcnt vmcnt(0)
	v_add_co_u32 v18, vcc_lo, v16, v35
	v_add_co_ci_u32_e32 v19, vcc_lo, 0, v17, vcc_lo
	v_mul_f32_e32 v0, s19, v0
	global_store_b32 v[18:19], v0, off
	s_or_b32 exec_lo, exec_lo, s0
	s_delay_alu instid0(SALU_CYCLE_1)
	s_mov_b32 s0, exec_lo
	v_cmpx_gt_i32_e64 s17, v51
	s_cbranch_execz .LBB20_43
.LBB20_60:
	s_waitcnt vmcnt(0)
	v_add_co_u32 v18, vcc_lo, v16, v35
	v_add_co_ci_u32_e32 v19, vcc_lo, 0, v17, vcc_lo
	v_mul_f32_e32 v0, s19, v1
	global_store_b32 v[18:19], v0, off offset:128
	s_or_b32 exec_lo, exec_lo, s0
	s_delay_alu instid0(SALU_CYCLE_1)
	s_mov_b32 s0, exec_lo
	v_cmpx_gt_i32_e64 s17, v50
	s_cbranch_execz .LBB20_44
.LBB20_61:
	v_add_co_u32 v0, vcc_lo, v16, v35
	v_add_co_ci_u32_e32 v1, vcc_lo, 0, v17, vcc_lo
	v_mul_f32_e32 v2, s19, v2
	global_store_b32 v[0:1], v2, off offset:256
	s_or_b32 exec_lo, exec_lo, s0
	s_delay_alu instid0(SALU_CYCLE_1)
	s_mov_b32 s0, exec_lo
	v_cmpx_gt_i32_e64 s17, v49
	s_cbranch_execz .LBB20_45
.LBB20_62:
	v_add_co_u32 v0, vcc_lo, v16, v35
	v_add_co_ci_u32_e32 v1, vcc_lo, 0, v17, vcc_lo
	v_mul_f32_e32 v2, s19, v3
	global_store_b32 v[0:1], v2, off offset:384
	s_or_b32 exec_lo, exec_lo, s0
	s_delay_alu instid0(SALU_CYCLE_1)
	s_mov_b32 s0, exec_lo
	v_cmpx_gt_i32_e64 s17, v48
	s_cbranch_execz .LBB20_46
.LBB20_63:
	v_add_co_u32 v0, vcc_lo, v16, v35
	v_add_co_ci_u32_e32 v1, vcc_lo, 0, v17, vcc_lo
	v_mul_f32_e32 v2, s19, v4
	global_store_b32 v[0:1], v2, off offset:512
	s_or_b32 exec_lo, exec_lo, s0
	s_delay_alu instid0(SALU_CYCLE_1)
	s_mov_b32 s0, exec_lo
	v_cmpx_gt_i32_e64 s17, v47
	s_cbranch_execz .LBB20_47
.LBB20_64:
	v_add_co_u32 v0, vcc_lo, v16, v35
	v_add_co_ci_u32_e32 v1, vcc_lo, 0, v17, vcc_lo
	v_mul_f32_e32 v2, s19, v5
	global_store_b32 v[0:1], v2, off offset:640
	s_or_b32 exec_lo, exec_lo, s0
	s_delay_alu instid0(SALU_CYCLE_1)
	s_mov_b32 s0, exec_lo
	v_cmpx_gt_i32_e64 s17, v46
	s_cbranch_execz .LBB20_48
.LBB20_65:
	v_add_co_u32 v0, vcc_lo, v16, v35
	v_add_co_ci_u32_e32 v1, vcc_lo, 0, v17, vcc_lo
	v_mul_f32_e32 v2, s19, v6
	global_store_b32 v[0:1], v2, off offset:768
	s_or_b32 exec_lo, exec_lo, s0
	s_delay_alu instid0(SALU_CYCLE_1)
	s_mov_b32 s0, exec_lo
	v_cmpx_gt_i32_e64 s17, v45
	s_cbranch_execz .LBB20_49
.LBB20_66:
	v_add_co_u32 v0, vcc_lo, v16, v35
	v_add_co_ci_u32_e32 v1, vcc_lo, 0, v17, vcc_lo
	v_mul_f32_e32 v2, s19, v7
	global_store_b32 v[0:1], v2, off offset:896
	s_or_b32 exec_lo, exec_lo, s0
	s_delay_alu instid0(SALU_CYCLE_1)
	s_mov_b32 s0, exec_lo
	v_cmpx_gt_i32_e64 s17, v44
	s_cbranch_execz .LBB20_50
.LBB20_67:
	v_add_co_u32 v0, vcc_lo, v16, v35
	v_add_co_ci_u32_e32 v1, vcc_lo, 0, v17, vcc_lo
	v_mul_f32_e32 v2, s19, v8
	global_store_b32 v[0:1], v2, off offset:1024
	s_or_b32 exec_lo, exec_lo, s0
	s_delay_alu instid0(SALU_CYCLE_1)
	s_mov_b32 s0, exec_lo
	v_cmpx_gt_i32_e64 s17, v43
	s_cbranch_execz .LBB20_51
.LBB20_68:
	v_add_co_u32 v0, vcc_lo, v16, v35
	v_add_co_ci_u32_e32 v1, vcc_lo, 0, v17, vcc_lo
	v_mul_f32_e32 v2, s19, v9
	global_store_b32 v[0:1], v2, off offset:1152
	s_or_b32 exec_lo, exec_lo, s0
	s_delay_alu instid0(SALU_CYCLE_1)
	s_mov_b32 s0, exec_lo
	v_cmpx_gt_i32_e64 s17, v42
	s_cbranch_execz .LBB20_52
.LBB20_69:
	v_add_co_u32 v0, vcc_lo, v16, v35
	v_add_co_ci_u32_e32 v1, vcc_lo, 0, v17, vcc_lo
	v_mul_f32_e32 v2, s19, v10
	global_store_b32 v[0:1], v2, off offset:1280
	s_or_b32 exec_lo, exec_lo, s0
	s_delay_alu instid0(SALU_CYCLE_1)
	s_mov_b32 s0, exec_lo
	v_cmpx_gt_i32_e64 s17, v41
	s_cbranch_execz .LBB20_53
.LBB20_70:
	v_add_co_u32 v0, vcc_lo, v16, v35
	v_add_co_ci_u32_e32 v1, vcc_lo, 0, v17, vcc_lo
	v_mul_f32_e32 v2, s19, v11
	global_store_b32 v[0:1], v2, off offset:1408
	s_or_b32 exec_lo, exec_lo, s0
	s_delay_alu instid0(SALU_CYCLE_1)
	s_mov_b32 s0, exec_lo
	v_cmpx_gt_i32_e64 s17, v40
	s_cbranch_execz .LBB20_54
.LBB20_71:
	v_add_co_u32 v0, vcc_lo, v16, v35
	v_add_co_ci_u32_e32 v1, vcc_lo, 0, v17, vcc_lo
	v_mul_f32_e32 v2, s19, v12
	global_store_b32 v[0:1], v2, off offset:1536
	s_or_b32 exec_lo, exec_lo, s0
	s_delay_alu instid0(SALU_CYCLE_1)
	s_mov_b32 s0, exec_lo
	v_cmpx_gt_i32_e64 s17, v39
	s_cbranch_execz .LBB20_55
.LBB20_72:
	v_add_co_u32 v0, vcc_lo, v16, v35
	v_add_co_ci_u32_e32 v1, vcc_lo, 0, v17, vcc_lo
	v_mul_f32_e32 v2, s19, v13
	global_store_b32 v[0:1], v2, off offset:1664
	s_or_b32 exec_lo, exec_lo, s0
	s_delay_alu instid0(SALU_CYCLE_1)
	s_mov_b32 s0, exec_lo
	v_cmpx_gt_i32_e64 s17, v38
	s_cbranch_execz .LBB20_56
.LBB20_73:
	v_add_co_u32 v0, vcc_lo, v16, v35
	v_add_co_ci_u32_e32 v1, vcc_lo, 0, v17, vcc_lo
	v_mul_f32_e32 v2, s19, v14
	global_store_b32 v[0:1], v2, off offset:1792
	s_or_b32 exec_lo, exec_lo, s0
	v_cmp_gt_i32_e32 vcc_lo, s17, v37
	s_and_b32 exec_lo, exec_lo, vcc_lo
	s_cbranch_execnz .LBB20_57
	s_branch .LBB20_58
	.section	.rodata,"a",@progbits
	.p2align	6, 0x0
	.amdhsa_kernel _Z13topk_moe_cudaILi512ELb0EEvPKfPfPiS2_iiff15topk_moe_config
		.amdhsa_group_segment_fixed_size 0
		.amdhsa_private_segment_fixed_size 0
		.amdhsa_kernarg_size 312
		.amdhsa_user_sgpr_count 15
		.amdhsa_user_sgpr_dispatch_ptr 0
		.amdhsa_user_sgpr_queue_ptr 0
		.amdhsa_user_sgpr_kernarg_segment_ptr 1
		.amdhsa_user_sgpr_dispatch_id 0
		.amdhsa_user_sgpr_private_segment_size 0
		.amdhsa_wavefront_size32 1
		.amdhsa_uses_dynamic_stack 0
		.amdhsa_enable_private_segment 0
		.amdhsa_system_sgpr_workgroup_id_x 1
		.amdhsa_system_sgpr_workgroup_id_y 0
		.amdhsa_system_sgpr_workgroup_id_z 0
		.amdhsa_system_sgpr_workgroup_info 0
		.amdhsa_system_vgpr_workitem_id 1
		.amdhsa_next_free_vgpr 91
		.amdhsa_next_free_sgpr 26
		.amdhsa_reserve_vcc 1
		.amdhsa_float_round_mode_32 0
		.amdhsa_float_round_mode_16_64 0
		.amdhsa_float_denorm_mode_32 3
		.amdhsa_float_denorm_mode_16_64 3
		.amdhsa_dx10_clamp 1
		.amdhsa_ieee_mode 1
		.amdhsa_fp16_overflow 0
		.amdhsa_workgroup_processor_mode 1
		.amdhsa_memory_ordered 1
		.amdhsa_forward_progress 0
		.amdhsa_shared_vgpr_count 0
		.amdhsa_exception_fp_ieee_invalid_op 0
		.amdhsa_exception_fp_denorm_src 0
		.amdhsa_exception_fp_ieee_div_zero 0
		.amdhsa_exception_fp_ieee_overflow 0
		.amdhsa_exception_fp_ieee_underflow 0
		.amdhsa_exception_fp_ieee_inexact 0
		.amdhsa_exception_int_div_zero 0
	.end_amdhsa_kernel
	.section	.text._Z13topk_moe_cudaILi512ELb0EEvPKfPfPiS2_iiff15topk_moe_config,"axG",@progbits,_Z13topk_moe_cudaILi512ELb0EEvPKfPfPiS2_iiff15topk_moe_config,comdat
.Lfunc_end20:
	.size	_Z13topk_moe_cudaILi512ELb0EEvPKfPfPiS2_iiff15topk_moe_config, .Lfunc_end20-_Z13topk_moe_cudaILi512ELb0EEvPKfPfPiS2_iiff15topk_moe_config
                                        ; -- End function
	.section	.AMDGPU.csdata,"",@progbits
; Kernel info:
; codeLenInByte = 12420
; NumSgprs: 28
; NumVgprs: 91
; ScratchSize: 0
; MemoryBound: 0
; FloatMode: 240
; IeeeMode: 1
; LDSByteSize: 0 bytes/workgroup (compile time only)
; SGPRBlocks: 3
; VGPRBlocks: 11
; NumSGPRsForWavesPerEU: 28
; NumVGPRsForWavesPerEU: 91
; Occupancy: 16
; WaveLimiterHint : 1
; COMPUTE_PGM_RSRC2:SCRATCH_EN: 0
; COMPUTE_PGM_RSRC2:USER_SGPR: 15
; COMPUTE_PGM_RSRC2:TRAP_HANDLER: 0
; COMPUTE_PGM_RSRC2:TGID_X_EN: 1
; COMPUTE_PGM_RSRC2:TGID_Y_EN: 0
; COMPUTE_PGM_RSRC2:TGID_Z_EN: 0
; COMPUTE_PGM_RSRC2:TIDIG_COMP_CNT: 1
	.section	.text._Z13topk_moe_cudaILi576ELb0EEvPKfPfPiS2_iiff15topk_moe_config,"axG",@progbits,_Z13topk_moe_cudaILi576ELb0EEvPKfPfPiS2_iiff15topk_moe_config,comdat
	.protected	_Z13topk_moe_cudaILi576ELb0EEvPKfPfPiS2_iiff15topk_moe_config ; -- Begin function _Z13topk_moe_cudaILi576ELb0EEvPKfPfPiS2_iiff15topk_moe_config
	.globl	_Z13topk_moe_cudaILi576ELb0EEvPKfPfPiS2_iiff15topk_moe_config
	.p2align	8
	.type	_Z13topk_moe_cudaILi576ELb0EEvPKfPfPiS2_iiff15topk_moe_config,@function
_Z13topk_moe_cudaILi576ELb0EEvPKfPfPiS2_iiff15topk_moe_config: ; @_Z13topk_moe_cudaILi576ELb0EEvPKfPfPiS2_iiff15topk_moe_config
; %bb.0:
	s_clause 0x1
	s_load_b32 s2, s[0:1], 0x44
	s_load_b128 s[48:51], s[0:1], 0x20
	v_bfe_u32 v1, v0, 10, 10
	s_waitcnt lgkmcnt(0)
	s_lshr_b32 s2, s2, 16
	s_delay_alu instid0(VALU_DEP_1) | instid1(SALU_CYCLE_1)
	v_mad_u64_u32 v[32:33], null, s15, s2, v[1:2]
	s_mov_b32 s2, exec_lo
	s_delay_alu instid0(VALU_DEP_1)
	v_cmpx_gt_i32_e64 s48, v32
	s_cbranch_execz .LBB21_117
; %bb.1:
	s_clause 0x1
	s_load_b128 s[52:55], s[0:1], 0x0
	s_load_b64 s[4:5], s[0:1], 0x10
	v_mul_lo_u32 v1, 0x240, v32
	v_and_b32_e32 v38, 0x3ff, v0
	s_delay_alu instid0(VALU_DEP_1) | instskip(NEXT) | instid1(VALU_DEP_3)
	v_dual_mov_b32 v18, 0 :: v_dual_lshlrev_b32 v37, 2, v38
	v_ashrrev_i32_e32 v2, 31, v1
	s_delay_alu instid0(VALU_DEP_1) | instskip(SKIP_1) | instid1(VALU_DEP_1)
	v_lshlrev_b64 v[33:34], 2, v[1:2]
	s_waitcnt lgkmcnt(0)
	v_add_co_u32 v0, vcc_lo, s52, v33
	s_delay_alu instid0(VALU_DEP_2) | instskip(NEXT) | instid1(VALU_DEP_2)
	v_add_co_ci_u32_e32 v1, vcc_lo, s53, v34, vcc_lo
	v_add_co_u32 v16, vcc_lo, v0, v37
	s_delay_alu instid0(VALU_DEP_2)
	v_add_co_ci_u32_e32 v17, vcc_lo, 0, v1, vcc_lo
	s_clause 0x11
	global_load_b32 v12, v[16:17], off
	global_load_b32 v13, v[16:17], off offset:128
	global_load_b32 v14, v[16:17], off offset:256
	;; [unrolled: 1-line block ×17, first 2 shown]
	global_load_u16 v39, v18, s[0:1] offset:48
	s_load_b32 s0, s[0:1], 0x30
	s_waitcnt vmcnt(15)
	scratch_store_b128 off, v[12:15], off
	s_waitcnt vmcnt(11)
	scratch_store_b128 off, v[8:11], off offset:16
	s_waitcnt vmcnt(7)
	scratch_store_b128 off, v[4:7], off offset:32
	;; [unrolled: 2-line block ×3, first 2 shown]
	s_waitcnt vmcnt(1)
	scratch_store_b64 off, v[35:36], off offset:64
	s_waitcnt lgkmcnt(0)
	s_bitcmp1_b32 s0, 16
	s_cselect_b32 s18, -1, 0
	s_delay_alu instid0(SALU_CYCLE_1)
	s_and_b32 vcc_lo, exec_lo, s18
	s_cbranch_vccnz .LBB21_7
; %bb.2:
	s_waitcnt vmcnt(0)
	v_and_b32_e32 v16, 1, v39
	s_delay_alu instid0(VALU_DEP_1)
	v_cmp_eq_u32_e32 vcc_lo, 0, v16
	s_cbranch_vccz .LBB21_4
; %bb.3:
	v_max3_f32 v16, v12, 0xff800000, v13
	v_mbcnt_lo_u32_b32 v20, -1, 0
	s_delay_alu instid0(VALU_DEP_2) | instskip(NEXT) | instid1(VALU_DEP_2)
	v_max3_f32 v16, v16, v14, v15
	v_xor_b32_e32 v17, 16, v20
	v_xor_b32_e32 v19, 8, v20
	s_delay_alu instid0(VALU_DEP_3) | instskip(NEXT) | instid1(VALU_DEP_3)
	v_max3_f32 v16, v16, v8, v9
	v_cmp_gt_i32_e32 vcc_lo, 32, v17
	s_delay_alu instid0(VALU_DEP_2) | instskip(SKIP_2) | instid1(VALU_DEP_3)
	v_max3_f32 v16, v16, v10, v11
	v_cndmask_b32_e32 v17, v20, v17, vcc_lo
	v_cmp_gt_i32_e32 vcc_lo, 32, v19
	v_max3_f32 v16, v16, v4, v5
	v_cndmask_b32_e32 v19, v20, v19, vcc_lo
	s_delay_alu instid0(VALU_DEP_2) | instskip(NEXT) | instid1(VALU_DEP_1)
	v_max3_f32 v16, v16, v6, v7
	v_max3_f32 v16, v16, v0, v1
	s_delay_alu instid0(VALU_DEP_1) | instskip(SKIP_1) | instid1(VALU_DEP_2)
	v_max3_f32 v18, v16, v2, v3
	v_lshlrev_b32_e32 v16, 2, v17
	v_max3_f32 v18, v18, v35, v36
	ds_bpermute_b32 v17, v16, v18
	s_waitcnt lgkmcnt(0)
	v_max_f32_e32 v21, v17, v17
	v_lshlrev_b32_e32 v17, 2, v19
	s_delay_alu instid0(VALU_DEP_2)
	v_max_f32_e32 v19, v18, v21
	v_xor_b32_e32 v21, 4, v20
	ds_bpermute_b32 v18, v17, v19
	v_cmp_gt_i32_e32 vcc_lo, 32, v21
	s_waitcnt lgkmcnt(0)
	v_dual_cndmask_b32 v21, v20, v21 :: v_dual_max_f32 v22, v18, v18
	s_delay_alu instid0(VALU_DEP_1)
	v_dual_max_f32 v21, v19, v22 :: v_dual_lshlrev_b32 v18, 2, v21
	v_xor_b32_e32 v22, 2, v20
	ds_bpermute_b32 v19, v18, v21
	v_cmp_gt_i32_e32 vcc_lo, 32, v22
	s_waitcnt lgkmcnt(0)
	v_dual_cndmask_b32 v22, v20, v22 :: v_dual_max_f32 v23, v19, v19
	s_delay_alu instid0(VALU_DEP_1) | instskip(NEXT) | instid1(VALU_DEP_2)
	v_lshlrev_b32_e32 v19, 2, v22
	v_max_f32_e32 v21, v21, v23
	v_xor_b32_e32 v23, 1, v20
	ds_bpermute_b32 v22, v19, v21
	v_cmp_gt_i32_e32 vcc_lo, 32, v23
	v_cndmask_b32_e32 v20, v20, v23, vcc_lo
	s_delay_alu instid0(VALU_DEP_1) | instskip(SKIP_2) | instid1(VALU_DEP_1)
	v_lshlrev_b32_e32 v20, 2, v20
	s_waitcnt lgkmcnt(0)
	v_max_f32_e32 v22, v22, v22
	v_max_f32_e32 v21, v21, v22
	ds_bpermute_b32 v22, v20, v21
	s_waitcnt lgkmcnt(0)
	v_max_f32_e32 v22, v22, v22
	s_delay_alu instid0(VALU_DEP_1) | instskip(NEXT) | instid1(VALU_DEP_1)
	v_max_f32_e32 v46, v21, v22
	v_sub_f32_e32 v21, v12, v46
	s_delay_alu instid0(VALU_DEP_1) | instskip(NEXT) | instid1(VALU_DEP_1)
	v_dual_mul_f32 v47, 0x3fb8aa3b, v21 :: v_dual_sub_f32 v24, v15, v46
	v_rndne_f32_e32 v66, v47
	s_delay_alu instid0(VALU_DEP_2) | instskip(NEXT) | instid1(VALU_DEP_1)
	v_mul_f32_e32 v50, 0x3fb8aa3b, v24
	v_rndne_f32_e32 v72, v50
	v_sub_f32_e32 v25, v8, v46
	v_fma_f32 v71, 0x3fb8aa3b, v24, -v50
	s_delay_alu instid0(VALU_DEP_3) | instskip(NEXT) | instid1(VALU_DEP_3)
	v_sub_f32_e32 v50, v50, v72
	v_dual_sub_f32 v26, v9, v46 :: v_dual_mul_f32 v51, 0x3fb8aa3b, v25
	v_cvt_i32_f32_e32 v72, v72
	s_delay_alu instid0(VALU_DEP_2) | instskip(NEXT) | instid1(VALU_DEP_3)
	v_mul_f32_e32 v52, 0x3fb8aa3b, v26
	v_fma_f32 v73, 0x3fb8aa3b, v25, -v51
	v_rndne_f32_e32 v74, v51
	s_delay_alu instid0(VALU_DEP_3) | instskip(SKIP_2) | instid1(VALU_DEP_4)
	v_rndne_f32_e32 v76, v52
	v_sub_f32_e32 v43, v2, v46
	v_fma_f32 v75, 0x3fb8aa3b, v26, -v52
	v_sub_f32_e32 v51, v51, v74
	v_cvt_i32_f32_e32 v74, v74
	v_sub_f32_e32 v52, v52, v76
	v_dual_sub_f32 v44, v3, v46 :: v_dual_mul_f32 v61, 0x3fb8aa3b, v43
	v_sub_f32_e32 v23, v14, v46
	v_cvt_i32_f32_e32 v76, v76
	s_delay_alu instid0(VALU_DEP_3) | instskip(NEXT) | instid1(VALU_DEP_3)
	v_mul_f32_e32 v62, 0x3fb8aa3b, v44
	v_dual_sub_f32 v22, v13, v46 :: v_dual_mul_f32 v49, 0x3fb8aa3b, v23
	v_rndne_f32_e32 v94, v61
	v_fma_f32 v93, 0x3fb8aa3b, v43, -v61
	s_delay_alu instid0(VALU_DEP_4) | instskip(NEXT) | instid1(VALU_DEP_4)
	v_rndne_f32_e32 v96, v62
	v_mul_f32_e32 v48, 0x3fb8aa3b, v22
	v_fma_f32 v95, 0x3fb8aa3b, v44, -v62
	v_fma_f32 v69, 0x3fb8aa3b, v23, -v49
	v_rndne_f32_e32 v70, v49
	v_sub_f32_e32 v62, v62, v96
	v_fma_f32 v67, 0x3fb8aa3b, v22, -v48
	v_rndne_f32_e32 v68, v48
	v_sub_f32_e32 v27, v10, v46
	v_fmac_f32_e32 v95, 0x32a5705f, v44
	v_cvt_i32_f32_e32 v96, v96
	s_delay_alu instid0(VALU_DEP_4) | instskip(NEXT) | instid1(VALU_DEP_4)
	v_dual_fmac_f32 v67, 0x32a5705f, v22 :: v_dual_sub_f32 v48, v48, v68
	v_dual_sub_f32 v28, v11, v46 :: v_dual_mul_f32 v53, 0x3fb8aa3b, v27
	v_sub_f32_e32 v31, v6, v46
	v_cvt_i32_f32_e32 v68, v68
	s_delay_alu instid0(VALU_DEP_4) | instskip(SKIP_1) | instid1(VALU_DEP_4)
	v_add_f32_e32 v48, v48, v67
	v_sub_f32_e32 v40, v7, v46
	v_dual_mul_f32 v54, 0x3fb8aa3b, v28 :: v_dual_mul_f32 v57, 0x3fb8aa3b, v31
	v_rndne_f32_e32 v78, v53
	s_delay_alu instid0(VALU_DEP_4) | instskip(NEXT) | instid1(VALU_DEP_3)
	v_exp_f32_e32 v48, v48
	v_mul_f32_e32 v58, 0x3fb8aa3b, v40
	s_delay_alu instid0(VALU_DEP_3)
	v_fma_f32 v79, 0x3fb8aa3b, v28, -v54
	v_rndne_f32_e32 v80, v54
	v_sub_f32_e32 v29, v4, v46
	v_fma_f32 v65, 0x3fb8aa3b, v21, -v47
	v_fma_f32 v87, 0x3fb8aa3b, v40, -v58
	v_rndne_f32_e32 v88, v58
	v_dual_sub_f32 v54, v54, v80 :: v_dual_sub_f32 v41, v0, v46
	v_sub_f32_e32 v47, v47, v66
	s_delay_alu instid0(VALU_DEP_4) | instskip(NEXT) | instid1(VALU_DEP_4)
	v_fmac_f32_e32 v87, 0x32a5705f, v40
	v_sub_f32_e32 v58, v58, v88
	s_delay_alu instid0(VALU_DEP_4) | instskip(SKIP_1) | instid1(VALU_DEP_3)
	v_dual_sub_f32 v42, v1, v46 :: v_dual_mul_f32 v59, 0x3fb8aa3b, v41
	v_dual_fmac_f32 v79, 0x32a5705f, v28 :: v_dual_sub_f32 v30, v5, v46
	v_dual_mul_f32 v55, 0x3fb8aa3b, v29 :: v_dual_add_f32 v58, v58, v87
	s_delay_alu instid0(VALU_DEP_2) | instskip(NEXT) | instid1(VALU_DEP_4)
	v_dual_fmac_f32 v73, 0x32a5705f, v25 :: v_dual_add_f32 v54, v54, v79
	v_mul_f32_e32 v60, 0x3fb8aa3b, v42
	s_delay_alu instid0(VALU_DEP_4) | instskip(SKIP_1) | instid1(VALU_DEP_4)
	v_mul_f32_e32 v56, 0x3fb8aa3b, v30
	v_cvt_i32_f32_e32 v66, v66
	v_dual_add_f32 v51, v51, v73 :: v_dual_add_f32 v62, v62, v95
	s_delay_alu instid0(VALU_DEP_4) | instskip(SKIP_4) | instid1(VALU_DEP_4)
	v_rndne_f32_e32 v92, v60
	v_fmac_f32_e32 v65, 0x32a5705f, v21
	v_fma_f32 v91, 0x3fb8aa3b, v42, -v60
	v_fma_f32 v83, 0x3fb8aa3b, v30, -v56
	v_rndne_f32_e32 v84, v56
	v_dual_sub_f32 v60, v60, v92 :: v_dual_add_f32 v47, v47, v65
	v_sub_f32_e32 v45, v35, v46
	s_delay_alu instid0(VALU_DEP_3) | instskip(SKIP_1) | instid1(VALU_DEP_4)
	v_dual_fmac_f32 v83, 0x32a5705f, v30 :: v_dual_sub_f32 v56, v56, v84
	v_fmac_f32_e32 v75, 0x32a5705f, v26
	v_exp_f32_e32 v47, v47
	v_cmp_ngt_f32_e32 vcc_lo, 0xc2ce8ed0, v21
	v_ldexp_f32 v48, v48, v68
	v_dual_add_f32 v56, v56, v83 :: v_dual_fmac_f32 v71, 0x32a5705f, v24
	v_dual_add_f32 v52, v52, v75 :: v_dual_sub_f32 v49, v49, v70
	v_cvt_i32_f32_e32 v70, v70
	v_fma_f32 v77, 0x3fb8aa3b, v27, -v53
	s_delay_alu instid0(VALU_DEP_4) | instskip(NEXT) | instid1(TRANS32_DEP_1)
	v_add_f32_e32 v50, v50, v71
	v_ldexp_f32 v47, v47, v66
	v_exp_f32_e32 v51, v51
	v_dual_sub_f32 v46, v36, v46 :: v_dual_mul_f32 v63, 0x3fb8aa3b, v45
	s_delay_alu instid0(VALU_DEP_3) | instskip(NEXT) | instid1(VALU_DEP_2)
	v_exp_f32_e32 v50, v50
	v_cndmask_b32_e32 v47, 0, v47, vcc_lo
	v_cmp_ngt_f32_e32 vcc_lo, 0xc2ce8ed0, v22
	v_fmac_f32_e32 v69, 0x32a5705f, v23
	v_exp_f32_e32 v52, v52
	v_rndne_f32_e32 v82, v55
	v_fma_f32 v81, 0x3fb8aa3b, v29, -v55
	s_delay_alu instid0(VALU_DEP_3) | instskip(SKIP_1) | instid1(TRANS32_DEP_2)
	v_dual_cndmask_b32 v48, 0, v48 :: v_dual_add_f32 v49, v49, v69
	v_cmp_ngt_f32_e32 vcc_lo, 0xc2ce8ed0, v23
	v_ldexp_f32 v50, v50, v72
	v_ldexp_f32 v51, v51, v74
	v_fma_f32 v85, 0x3fb8aa3b, v31, -v57
	v_exp_f32_e32 v49, v49
	s_delay_alu instid0(TRANS32_DEP_2)
	v_ldexp_f32 v52, v52, v76
	v_fmac_f32_e32 v91, 0x32a5705f, v42
	v_fmac_f32_e32 v81, 0x32a5705f, v29
	v_exp_f32_e32 v54, v54
	v_rndne_f32_e32 v86, v57
	v_cvt_i32_f32_e32 v80, v80
	v_add_f32_e32 v60, v60, v91
	v_exp_f32_e32 v56, v56
	v_rndne_f32_e32 v90, v59
	v_ldexp_f32 v49, v49, v70
	v_cvt_i32_f32_e32 v84, v84
	v_fma_f32 v89, 0x3fb8aa3b, v41, -v59
	v_exp_f32_e32 v58, v58
	v_ldexp_f32 v54, v54, v80
	v_cndmask_b32_e32 v49, 0, v49, vcc_lo
	v_cmp_nlt_f32_e32 vcc_lo, 0x42b17218, v21
	v_cvt_i32_f32_e32 v88, v88
	v_ldexp_f32 v56, v56, v84
	v_exp_f32_e32 v60, v60
	v_cvt_i32_f32_e32 v92, v92
	v_cndmask_b32_e32 v21, 0x7f800000, v47, vcc_lo
	v_cmp_nlt_f32_e32 vcc_lo, 0x42b17218, v22
	v_sub_f32_e32 v53, v53, v78
	v_cvt_i32_f32_e32 v78, v78
	v_ldexp_f32 v58, v58, v88
	v_fma_f32 v97, 0x3fb8aa3b, v45, -v63
	v_cndmask_b32_e32 v22, 0x7f800000, v48, vcc_lo
	v_cmp_ngt_f32_e32 vcc_lo, 0xc2ce8ed0, v24
	v_fmac_f32_e32 v77, 0x32a5705f, v27
	v_ldexp_f32 v60, v60, v92
	v_rndne_f32_e32 v65, v63
	v_add_f32_e32 v48, v21, v22
	v_cndmask_b32_e32 v47, 0, v50, vcc_lo
	v_cmp_nlt_f32_e32 vcc_lo, 0x42b17218, v23
	v_dual_mul_f32 v64, 0x3fb8aa3b, v46 :: v_dual_add_f32 v53, v53, v77
	v_sub_f32_e32 v63, v63, v65
	v_exp_f32_e32 v62, v62
	v_cndmask_b32_e32 v23, 0x7f800000, v49, vcc_lo
	v_cmp_ngt_f32_e32 vcc_lo, 0xc2ce8ed0, v25
	v_exp_f32_e32 v53, v53
	v_fma_f32 v67, 0x3fb8aa3b, v46, -v64
	v_rndne_f32_e32 v69, v64
	v_cvt_i32_f32_e32 v65, v65
	v_cndmask_b32_e32 v49, 0, v51, vcc_lo
	v_cmp_nlt_f32_e32 vcc_lo, 0x42b17218, v24
	v_sub_f32_e32 v55, v55, v82
	v_cvt_i32_f32_e32 v82, v82
	v_dual_fmac_f32 v67, 0x32a5705f, v46 :: v_dual_sub_f32 v64, v64, v69
	v_cndmask_b32_e32 v24, 0x7f800000, v47, vcc_lo
	v_cmp_ngt_f32_e32 vcc_lo, 0xc2ce8ed0, v26
	v_fmac_f32_e32 v85, 0x32a5705f, v31
	v_add_f32_e32 v47, v23, v48
	v_ldexp_f32 v53, v53, v78
	v_dual_add_f32 v55, v55, v81 :: v_dual_cndmask_b32 v48, 0, v52
	v_cmp_nlt_f32_e32 vcc_lo, 0x42b17218, v25
	s_delay_alu instid0(VALU_DEP_4) | instskip(SKIP_1) | instid1(VALU_DEP_4)
	v_add_f32_e32 v47, v24, v47
	v_add_f32_e32 v64, v64, v67
	v_exp_f32_e32 v55, v55
	v_cvt_i32_f32_e32 v69, v69
	v_cndmask_b32_e32 v25, 0x7f800000, v49, vcc_lo
	v_cmp_ngt_f32_e32 vcc_lo, 0xc2ce8ed0, v27
	v_exp_f32_e32 v64, v64
	v_ldexp_f32 v62, v62, v96
	s_delay_alu instid0(VALU_DEP_3)
	v_add_f32_e32 v47, v25, v47
	v_cndmask_b32_e32 v49, 0, v53, vcc_lo
	v_cmp_nlt_f32_e32 vcc_lo, 0x42b17218, v26
	v_sub_f32_e32 v57, v57, v86
	v_ldexp_f32 v55, v55, v82
	v_cvt_i32_f32_e32 v86, v86
	v_cndmask_b32_e32 v26, 0x7f800000, v48, vcc_lo
	v_cmp_ngt_f32_e32 vcc_lo, 0xc2ce8ed0, v28
	v_add_f32_e32 v57, v57, v85
	v_ldexp_f32 v64, v64, v69
	v_fmac_f32_e32 v97, 0x32a5705f, v45
	v_dual_add_f32 v47, v26, v47 :: v_dual_cndmask_b32 v48, 0, v54
	v_cmp_nlt_f32_e32 vcc_lo, 0x42b17218, v27
	v_exp_f32_e32 v57, v57
	s_delay_alu instid0(VALU_DEP_3) | instskip(SKIP_2) | instid1(VALU_DEP_3)
	v_add_f32_e32 v63, v63, v97
	v_cndmask_b32_e32 v27, 0x7f800000, v49, vcc_lo
	v_cmp_ngt_f32_e32 vcc_lo, 0xc2ce8ed0, v29
	v_exp_f32_e32 v63, v63
	s_delay_alu instid0(VALU_DEP_2) | instskip(SKIP_3) | instid1(TRANS32_DEP_2)
	v_add_f32_e32 v47, v27, v47
	v_cndmask_b32_e32 v49, 0, v55, vcc_lo
	v_cmp_nlt_f32_e32 vcc_lo, 0x42b17218, v28
	v_sub_f32_e32 v59, v59, v90
	v_ldexp_f32 v57, v57, v86
	v_cvt_i32_f32_e32 v90, v90
	v_cndmask_b32_e32 v28, 0x7f800000, v48, vcc_lo
	v_cmp_ngt_f32_e32 vcc_lo, 0xc2ce8ed0, v30
	v_fmac_f32_e32 v89, 0x32a5705f, v41
	v_ldexp_f32 v63, v63, v65
	s_delay_alu instid0(VALU_DEP_4) | instskip(SKIP_1) | instid1(VALU_DEP_4)
	v_dual_add_f32 v47, v28, v47 :: v_dual_cndmask_b32 v48, 0, v56
	v_cmp_nlt_f32_e32 vcc_lo, 0x42b17218, v29
	v_add_f32_e32 v59, v59, v89
	v_cndmask_b32_e32 v29, 0x7f800000, v49, vcc_lo
	v_cmp_ngt_f32_e32 vcc_lo, 0xc2ce8ed0, v31
	s_delay_alu instid0(VALU_DEP_3) | instskip(NEXT) | instid1(VALU_DEP_2)
	v_exp_f32_e32 v59, v59
	v_add_f32_e32 v47, v29, v47
	v_cndmask_b32_e32 v49, 0, v57, vcc_lo
	v_cmp_nlt_f32_e32 vcc_lo, 0x42b17218, v30
	v_sub_f32_e32 v61, v61, v94
	v_cvt_i32_f32_e32 v94, v94
	v_cndmask_b32_e32 v30, 0x7f800000, v48, vcc_lo
	v_cmp_ngt_f32_e32 vcc_lo, 0xc2ce8ed0, v40
	v_fmac_f32_e32 v93, 0x32a5705f, v43
	s_delay_alu instid0(TRANS32_DEP_1) | instskip(NEXT) | instid1(VALU_DEP_4)
	v_ldexp_f32 v59, v59, v90
	v_dual_add_f32 v47, v30, v47 :: v_dual_cndmask_b32 v48, 0, v58
	v_cmp_nlt_f32_e32 vcc_lo, 0x42b17218, v31
	s_delay_alu instid0(VALU_DEP_4) | instskip(SKIP_2) | instid1(VALU_DEP_3)
	v_add_f32_e32 v61, v61, v93
	v_cndmask_b32_e32 v31, 0x7f800000, v49, vcc_lo
	v_cmp_ngt_f32_e32 vcc_lo, 0xc2ce8ed0, v41
	v_exp_f32_e32 v61, v61
	s_delay_alu instid0(VALU_DEP_2)
	v_add_f32_e32 v47, v31, v47
	v_cndmask_b32_e32 v49, 0, v59, vcc_lo
	v_cmp_nlt_f32_e32 vcc_lo, 0x42b17218, v40
	v_cndmask_b32_e32 v40, 0x7f800000, v48, vcc_lo
	v_cmp_ngt_f32_e32 vcc_lo, 0xc2ce8ed0, v42
	s_waitcnt_depctr 0xfff
	v_ldexp_f32 v61, v61, v94
	v_dual_add_f32 v47, v40, v47 :: v_dual_cndmask_b32 v48, 0, v60
	v_cmp_nlt_f32_e32 vcc_lo, 0x42b17218, v41
	v_cndmask_b32_e32 v41, 0x7f800000, v49, vcc_lo
	v_cmp_ngt_f32_e32 vcc_lo, 0xc2ce8ed0, v43
	s_delay_alu instid0(VALU_DEP_2) | instskip(SKIP_4) | instid1(VALU_DEP_2)
	v_add_f32_e32 v47, v41, v47
	v_cndmask_b32_e32 v49, 0, v61, vcc_lo
	v_cmp_nlt_f32_e32 vcc_lo, 0x42b17218, v42
	v_cndmask_b32_e32 v42, 0x7f800000, v48, vcc_lo
	v_cmp_ngt_f32_e32 vcc_lo, 0xc2ce8ed0, v44
	v_dual_add_f32 v47, v42, v47 :: v_dual_cndmask_b32 v48, 0, v62
	v_cmp_nlt_f32_e32 vcc_lo, 0x42b17218, v43
	v_cndmask_b32_e32 v43, 0x7f800000, v49, vcc_lo
	v_cmp_ngt_f32_e32 vcc_lo, 0xc2ce8ed0, v45
	s_delay_alu instid0(VALU_DEP_2) | instskip(SKIP_4) | instid1(VALU_DEP_2)
	v_add_f32_e32 v47, v43, v47
	v_cndmask_b32_e32 v49, 0, v63, vcc_lo
	v_cmp_nlt_f32_e32 vcc_lo, 0x42b17218, v44
	v_cndmask_b32_e32 v44, 0x7f800000, v48, vcc_lo
	v_cmp_ngt_f32_e32 vcc_lo, 0xc2ce8ed0, v46
	v_dual_add_f32 v47, v44, v47 :: v_dual_cndmask_b32 v48, 0, v64
	v_cmp_nlt_f32_e32 vcc_lo, 0x42b17218, v45
	v_cndmask_b32_e32 v45, 0x7f800000, v49, vcc_lo
	v_cmp_nlt_f32_e32 vcc_lo, 0x42b17218, v46
	s_delay_alu instid0(VALU_DEP_2) | instskip(NEXT) | instid1(VALU_DEP_1)
	v_dual_add_f32 v47, v45, v47 :: v_dual_cndmask_b32 v46, 0x7f800000, v48
	v_add_f32_e32 v47, v46, v47
	ds_bpermute_b32 v16, v16, v47
	s_waitcnt lgkmcnt(0)
	v_add_f32_e32 v16, v47, v16
	ds_bpermute_b32 v17, v17, v16
	s_waitcnt lgkmcnt(0)
	v_add_f32_e32 v16, v16, v17
	ds_bpermute_b32 v17, v18, v16
	s_waitcnt lgkmcnt(0)
	v_add_f32_e32 v16, v16, v17
	ds_bpermute_b32 v17, v19, v16
	s_waitcnt lgkmcnt(0)
	v_add_f32_e32 v16, v16, v17
	ds_bpermute_b32 v17, v20, v16
	s_waitcnt lgkmcnt(0)
	v_add_f32_e32 v16, v16, v17
	s_delay_alu instid0(VALU_DEP_1) | instskip(SKIP_1) | instid1(VALU_DEP_2)
	v_div_scale_f32 v17, null, v16, v16, 1.0
	v_div_scale_f32 v20, vcc_lo, 1.0, v16, 1.0
	v_rcp_f32_e32 v18, v17
	s_waitcnt_depctr 0xfff
	v_fma_f32 v19, -v17, v18, 1.0
	s_delay_alu instid0(VALU_DEP_1) | instskip(NEXT) | instid1(VALU_DEP_1)
	v_fmac_f32_e32 v18, v19, v18
	v_mul_f32_e32 v19, v20, v18
	s_delay_alu instid0(VALU_DEP_1) | instskip(NEXT) | instid1(VALU_DEP_1)
	v_fma_f32 v47, -v17, v19, v20
	v_fmac_f32_e32 v19, v47, v18
	s_delay_alu instid0(VALU_DEP_1) | instskip(NEXT) | instid1(VALU_DEP_1)
	v_fma_f32 v17, -v17, v19, v20
	v_div_fmas_f32 v17, v17, v18, v19
	s_delay_alu instid0(VALU_DEP_1) | instskip(NEXT) | instid1(VALU_DEP_1)
	v_div_fixup_f32 v47, v17, v16, 1.0
	v_mul_f32_e32 v16, v21, v47
	v_mul_f32_e32 v17, v22, v47
	;; [unrolled: 1-line block ×18, first 2 shown]
	s_clause 0x4
	scratch_store_b128 off, v[16:19], off
	scratch_store_b128 off, v[20:23], off offset:16
	scratch_store_b128 off, v[24:27], off offset:32
	;; [unrolled: 1-line block ×3, first 2 shown]
	scratch_store_b32 off, v40, off offset:64
	s_cbranch_execz .LBB21_5
	s_branch .LBB21_6
.LBB21_4:
                                        ; implicit-def: $vgpr16
                                        ; implicit-def: $vgpr20
                                        ; implicit-def: $vgpr24
                                        ; implicit-def: $vgpr28
                                        ; implicit-def: $vgpr40
                                        ; implicit-def: $vgpr41
.LBB21_5:
	v_dual_mul_f32 v16, 0xbfb8aa3b, v12 :: v_dual_mul_f32 v17, 0xbfb8aa3b, v13
	v_dual_mul_f32 v18, 0xbfb8aa3b, v14 :: v_dual_mul_f32 v21, 0xbfb8aa3b, v15
	v_cmp_nlt_f32_e32 vcc_lo, 0x42ce8ed0, v12
	s_delay_alu instid0(VALU_DEP_3)
	v_rndne_f32_e32 v19, v16
	v_fma_f32 v20, 0xbfb8aa3b, v12, -v16
	v_rndne_f32_e32 v22, v17
	v_fma_f32 v23, 0xbfb8aa3b, v13, -v17
	v_rndne_f32_e32 v26, v21
	v_sub_f32_e32 v16, v16, v19
	s_delay_alu instid0(VALU_DEP_4) | instskip(NEXT) | instid1(VALU_DEP_4)
	v_dual_fmac_f32 v20, 0xb2a5705f, v12 :: v_dual_sub_f32 v17, v17, v22
	v_fmac_f32_e32 v23, 0xb2a5705f, v13
	v_mul_f32_e32 v24, 0xbfb8aa3b, v8
	v_cvt_i32_f32_e32 v19, v19
	s_delay_alu instid0(VALU_DEP_4)
	v_add_f32_e32 v16, v16, v20
	v_rndne_f32_e32 v25, v18
	v_add_f32_e32 v17, v17, v23
	v_fma_f32 v23, 0xbfb8aa3b, v15, -v21
	v_sub_f32_e32 v21, v21, v26
	v_exp_f32_e32 v16, v16
	v_fma_f32 v20, 0xbfb8aa3b, v14, -v18
	s_delay_alu instid0(VALU_DEP_3) | instskip(SKIP_4) | instid1(TRANS32_DEP_2)
	v_dual_sub_f32 v18, v18, v25 :: v_dual_fmac_f32 v23, 0xb2a5705f, v15
	v_exp_f32_e32 v17, v17
	v_rndne_f32_e32 v27, v24
	v_cmp_nlt_f32_e64 s0, 0x42ce8ed0, v15
	v_cmp_ngt_f32_e64 s1, 0xc2b17218, v15
	v_ldexp_f32 v16, v16, v19
	v_cvt_i32_f32_e32 v19, v25
	s_delay_alu instid0(VALU_DEP_2) | instskip(SKIP_2) | instid1(VALU_DEP_1)
	v_cndmask_b32_e32 v16, 0, v16, vcc_lo
	v_cmp_nlt_f32_e32 vcc_lo, 0x42ce8ed0, v13
	v_fmac_f32_e32 v20, 0xb2a5705f, v14
	v_add_f32_e32 v18, v18, v20
	v_cvt_i32_f32_e32 v20, v22
	s_delay_alu instid0(VALU_DEP_1) | instskip(SKIP_3) | instid1(VALU_DEP_4)
	v_ldexp_f32 v17, v17, v20
	v_add_f32_e32 v20, v21, v23
	v_cvt_i32_f32_e32 v21, v26
	v_sub_f32_e32 v23, v24, v27
	v_cndmask_b32_e32 v17, 0, v17, vcc_lo
	v_cmp_ngt_f32_e32 vcc_lo, 0xc2b17218, v12
	v_cndmask_b32_e32 v12, 0x7f800000, v16, vcc_lo
	v_cmp_ngt_f32_e32 vcc_lo, 0xc2b17218, v13
	s_delay_alu instid0(VALU_DEP_2)
	v_dual_add_f32 v12, 1.0, v12 :: v_dual_cndmask_b32 v13, 0x7f800000, v17
	v_exp_f32_e32 v18, v18
	v_exp_f32_e32 v17, v20
	v_cmp_nlt_f32_e32 vcc_lo, 0x42ce8ed0, v14
	v_fma_f32 v20, 0xbfb8aa3b, v8, -v24
	v_add_f32_e32 v13, 1.0, v13
	s_waitcnt_depctr 0xfff
	v_ldexp_f32 v16, v18, v19
	v_div_scale_f32 v18, null, v12, v12, 1.0
	v_ldexp_f32 v17, v17, v21
	s_delay_alu instid0(VALU_DEP_2) | instskip(NEXT) | instid1(VALU_DEP_1)
	v_rcp_f32_e32 v19, v18
	v_cndmask_b32_e64 v17, 0, v17, s0
	s_delay_alu instid0(VALU_DEP_1) | instskip(SKIP_3) | instid1(VALU_DEP_2)
	v_cndmask_b32_e64 v15, 0x7f800000, v17, s1
	s_waitcnt_depctr 0xfff
	v_fma_f32 v21, -v18, v19, 1.0
	v_add_f32_e32 v15, 1.0, v15
	v_fmac_f32_e32 v19, v21, v19
	v_div_scale_f32 v21, s0, 1.0, v13, 1.0
	v_cndmask_b32_e32 v16, 0, v16, vcc_lo
	v_cmp_ngt_f32_e32 vcc_lo, 0xc2b17218, v14
	s_delay_alu instid0(VALU_DEP_2) | instskip(SKIP_2) | instid1(VALU_DEP_3)
	v_cndmask_b32_e32 v14, 0x7f800000, v16, vcc_lo
	v_div_scale_f32 v16, null, v13, v13, 1.0
	v_div_scale_f32 v25, vcc_lo, 1.0, v12, 1.0
	v_add_f32_e32 v14, 1.0, v14
	s_delay_alu instid0(VALU_DEP_3) | instskip(NEXT) | instid1(VALU_DEP_1)
	v_rcp_f32_e32 v22, v16
	v_div_scale_f32 v24, null, v14, v14, 1.0
	s_delay_alu instid0(VALU_DEP_1) | instskip(SKIP_2) | instid1(VALU_DEP_1)
	v_rcp_f32_e32 v26, v24
	s_waitcnt_depctr 0xfff
	v_fma_f32 v28, -v16, v22, 1.0
	v_fmac_f32_e32 v22, v28, v22
	v_fma_f32 v17, -v24, v26, 1.0
	s_delay_alu instid0(VALU_DEP_2) | instskip(NEXT) | instid1(VALU_DEP_2)
	v_mul_f32_e32 v29, v21, v22
	v_fmac_f32_e32 v26, v17, v26
	v_mul_f32_e32 v28, v25, v19
	s_delay_alu instid0(VALU_DEP_3) | instskip(SKIP_1) | instid1(VALU_DEP_3)
	v_fma_f32 v17, -v16, v29, v21
	v_fmac_f32_e32 v20, 0xb2a5705f, v8
	v_fma_f32 v30, -v18, v28, v25
	s_delay_alu instid0(VALU_DEP_2) | instskip(NEXT) | instid1(VALU_DEP_2)
	v_dual_fmac_f32 v29, v17, v22 :: v_dual_add_f32 v20, v23, v20
	v_fmac_f32_e32 v28, v30, v19
	s_delay_alu instid0(VALU_DEP_2) | instskip(NEXT) | instid1(VALU_DEP_2)
	v_fma_f32 v21, -v16, v29, v21
	v_fma_f32 v17, -v18, v28, v25
	s_delay_alu instid0(VALU_DEP_4) | instskip(SKIP_1) | instid1(VALU_DEP_2)
	v_exp_f32_e32 v18, v20
	v_div_scale_f32 v20, null, v15, v15, 1.0
	v_div_fmas_f32 v17, v17, v19, v28
	v_cvt_i32_f32_e32 v19, v27
	s_delay_alu instid0(VALU_DEP_3) | instskip(SKIP_1) | instid1(VALU_DEP_2)
	v_rcp_f32_e32 v25, v20
	s_mov_b32 vcc_lo, s0
	v_div_fixup_f32 v16, v17, v12, 1.0
	s_waitcnt_depctr 0xfff
	v_ldexp_f32 v12, v18, v19
	v_mul_f32_e32 v17, 0xbfb8aa3b, v9
	v_div_scale_f32 v31, s1, 1.0, v14, 1.0
	v_div_fmas_f32 v18, v21, v22, v29
	v_cmp_nlt_f32_e32 vcc_lo, 0x42ce8ed0, v8
	v_fma_f32 v22, -v20, v25, 1.0
	v_rndne_f32_e32 v19, v17
	v_fma_f32 v21, 0xbfb8aa3b, v9, -v17
	s_delay_alu instid0(VALU_DEP_3) | instskip(SKIP_2) | instid1(VALU_DEP_4)
	v_fmac_f32_e32 v25, v22, v25
	v_dual_mul_f32 v23, v31, v26 :: v_dual_cndmask_b32 v12, 0, v12
	v_cmp_ngt_f32_e32 vcc_lo, 0xc2b17218, v8
	v_fmac_f32_e32 v21, 0xb2a5705f, v9
	s_delay_alu instid0(VALU_DEP_3) | instskip(NEXT) | instid1(VALU_DEP_4)
	v_fma_f32 v27, -v24, v23, v31
	v_cndmask_b32_e32 v8, 0x7f800000, v12, vcc_lo
	v_sub_f32_e32 v12, v17, v19
	v_div_fixup_f32 v17, v18, v13, 1.0
	s_delay_alu instid0(VALU_DEP_4) | instskip(SKIP_2) | instid1(VALU_DEP_2)
	v_fmac_f32_e32 v23, v27, v26
	s_mov_b32 vcc_lo, s1
	v_cvt_i32_f32_e32 v19, v19
	v_fma_f32 v13, -v24, v23, v31
	v_mul_f32_e32 v24, 0xbfb8aa3b, v10
	s_delay_alu instid0(VALU_DEP_2) | instskip(NEXT) | instid1(VALU_DEP_2)
	v_div_fmas_f32 v13, v13, v26, v23
	v_rndne_f32_e32 v27, v24
	v_fma_f32 v28, 0xbfb8aa3b, v10, -v24
	v_cmp_nlt_f32_e32 vcc_lo, 0x42ce8ed0, v9
	s_delay_alu instid0(VALU_DEP_4) | instskip(NEXT) | instid1(VALU_DEP_3)
	v_div_fixup_f32 v18, v13, v14, 1.0
	v_dual_sub_f32 v13, v24, v27 :: v_dual_fmac_f32 v28, 0xb2a5705f, v10
	v_add_f32_e32 v12, v12, v21
	v_div_scale_f32 v21, s0, 1.0, v15, 1.0
	s_delay_alu instid0(VALU_DEP_3) | instskip(NEXT) | instid1(VALU_DEP_3)
	v_add_f32_e32 v13, v13, v28
	v_exp_f32_e32 v12, v12
	s_delay_alu instid0(VALU_DEP_2) | instskip(NEXT) | instid1(VALU_DEP_1)
	v_mul_f32_e32 v23, v21, v25
	v_fma_f32 v29, -v20, v23, v21
	s_waitcnt_depctr 0xfff
	v_ldexp_f32 v12, v12, v19
	s_delay_alu instid0(VALU_DEP_1) | instskip(SKIP_1) | instid1(VALU_DEP_2)
	v_dual_fmac_f32 v23, v29, v25 :: v_dual_cndmask_b32 v12, 0, v12
	v_cmp_ngt_f32_e32 vcc_lo, 0xc2b17218, v9
	v_fma_f32 v19, -v20, v23, v21
	v_cvt_i32_f32_e32 v20, v27
	s_delay_alu instid0(VALU_DEP_4) | instskip(SKIP_3) | instid1(VALU_DEP_3)
	v_cndmask_b32_e32 v9, 0x7f800000, v12, vcc_lo
	v_exp_f32_e32 v12, v13
	v_mul_f32_e32 v13, 0xbfb8aa3b, v11
	v_cmp_nlt_f32_e32 vcc_lo, 0x42ce8ed0, v10
	v_dual_add_f32 v9, 1.0, v9 :: v_dual_add_f32 v8, 1.0, v8
	s_delay_alu instid0(VALU_DEP_3) | instskip(SKIP_1) | instid1(VALU_DEP_3)
	v_rndne_f32_e32 v21, v13
	v_fma_f32 v24, 0xbfb8aa3b, v11, -v13
	v_div_scale_f32 v27, null, v9, v9, 1.0
	s_delay_alu instid0(VALU_DEP_4) | instskip(NEXT) | instid1(TRANS32_DEP_1)
	v_div_scale_f32 v22, null, v8, v8, 1.0
	v_ldexp_f32 v12, v12, v20
	s_delay_alu instid0(VALU_DEP_4) | instskip(NEXT) | instid1(VALU_DEP_3)
	v_dual_sub_f32 v13, v13, v21 :: v_dual_fmac_f32 v24, 0xb2a5705f, v11
	v_rcp_f32_e32 v26, v22
	v_rcp_f32_e32 v28, v27
	s_delay_alu instid0(VALU_DEP_2)
	v_cndmask_b32_e32 v12, 0, v12, vcc_lo
	s_mov_b32 vcc_lo, s0
	v_add_f32_e32 v13, v13, v24
	v_div_fmas_f32 v19, v19, v25, v23
	v_cmp_ngt_f32_e32 vcc_lo, 0xc2b17218, v10
	v_cvt_i32_f32_e32 v21, v21
	s_delay_alu instid0(TRANS32_DEP_2)
	v_fma_f32 v14, -v22, v26, 1.0
	v_cndmask_b32_e32 v10, 0x7f800000, v12, vcc_lo
	v_exp_f32_e32 v12, v13
	v_mul_f32_e32 v13, 0xbfb8aa3b, v4
	v_cmp_nlt_f32_e32 vcc_lo, 0x42ce8ed0, v11
	v_div_fixup_f32 v19, v19, v15, 1.0
	s_delay_alu instid0(VALU_DEP_3) | instskip(SKIP_3) | instid1(VALU_DEP_4)
	v_rndne_f32_e32 v24, v13
	v_fmac_f32_e32 v26, v14, v26
	v_div_scale_f32 v14, s1, 1.0, v8, 1.0
	v_fma_f32 v25, 0xbfb8aa3b, v4, -v13
	v_sub_f32_e32 v13, v13, v24
	s_delay_alu instid0(TRANS32_DEP_1) | instskip(NEXT) | instid1(VALU_DEP_3)
	v_ldexp_f32 v12, v12, v21
	v_dual_mul_f32 v20, v14, v26 :: v_dual_fmac_f32 v25, 0xb2a5705f, v4
	s_delay_alu instid0(VALU_DEP_2) | instskip(NEXT) | instid1(VALU_DEP_2)
	v_cndmask_b32_e32 v12, 0, v12, vcc_lo
	v_fma_f32 v23, -v22, v20, v14
	v_cmp_ngt_f32_e32 vcc_lo, 0xc2b17218, v11
	s_delay_alu instid0(VALU_DEP_2) | instskip(NEXT) | instid1(VALU_DEP_4)
	v_dual_add_f32 v13, v13, v25 :: v_dual_fmac_f32 v20, v23, v26
	v_cndmask_b32_e32 v11, 0x7f800000, v12, vcc_lo
	v_fma_f32 v23, -v27, v28, 1.0
	s_delay_alu instid0(VALU_DEP_3)
	v_exp_f32_e32 v12, v13
	v_cmp_nlt_f32_e32 vcc_lo, 0x42ce8ed0, v4
	v_fma_f32 v14, -v22, v20, v14
	v_cvt_i32_f32_e32 v22, v24
	v_fmac_f32_e32 v28, v23, v28
	v_div_scale_f32 v23, s0, 1.0, v9, 1.0
	v_dual_add_f32 v10, 1.0, v10 :: v_dual_add_f32 v11, 1.0, v11
	s_delay_alu instid0(VALU_DEP_2) | instskip(NEXT) | instid1(TRANS32_DEP_1)
	v_mul_f32_e32 v13, v23, v28
	v_ldexp_f32 v12, v12, v22
	s_delay_alu instid0(VALU_DEP_3) | instskip(NEXT) | instid1(VALU_DEP_4)
	v_div_scale_f32 v29, null, v10, v10, 1.0
	v_div_scale_f32 v25, null, v11, v11, 1.0
	s_delay_alu instid0(VALU_DEP_4) | instskip(NEXT) | instid1(VALU_DEP_3)
	v_fma_f32 v24, -v27, v13, v23
	v_rcp_f32_e32 v21, v29
	v_cndmask_b32_e32 v12, 0, v12, vcc_lo
	s_mov_b32 vcc_lo, s1
	v_rcp_f32_e32 v30, v25
	v_div_fmas_f32 v14, v14, v26, v20
	v_fmac_f32_e32 v13, v24, v28
	v_cmp_ngt_f32_e32 vcc_lo, 0xc2b17218, v4
	v_div_scale_f32 v26, s1, 1.0, v11, 1.0
	s_delay_alu instid0(VALU_DEP_4) | instskip(NEXT) | instid1(TRANS32_DEP_2)
	v_div_fixup_f32 v20, v14, v8, 1.0
	v_fma_f32 v15, -v29, v21, 1.0
	v_fma_f32 v14, -v27, v13, v23
	v_mul_f32_e32 v23, 0xbfb8aa3b, v5
	v_cndmask_b32_e32 v4, 0x7f800000, v12, vcc_lo
	v_fma_f32 v12, -v25, v30, 1.0
	v_fmac_f32_e32 v21, v15, v21
	v_div_scale_f32 v15, s2, 1.0, v10, 1.0
	v_fma_f32 v24, 0xbfb8aa3b, v5, -v23
	s_mov_b32 vcc_lo, s0
	s_delay_alu instid0(VALU_DEP_2) | instskip(SKIP_1) | instid1(VALU_DEP_3)
	v_mul_f32_e32 v22, v15, v21
	v_div_fmas_f32 v13, v14, v28, v13
	v_fmac_f32_e32 v24, 0xb2a5705f, v5
	v_fmac_f32_e32 v30, v12, v30
	v_rndne_f32_e32 v12, v23
	v_fma_f32 v8, -v29, v22, v15
	s_mov_b32 vcc_lo, s2
	s_delay_alu instid0(VALU_DEP_1) | instskip(NEXT) | instid1(VALU_DEP_1)
	v_dual_sub_f32 v23, v23, v12 :: v_dual_fmac_f32 v22, v8, v21
	v_add_f32_e32 v23, v23, v24
	s_delay_alu instid0(VALU_DEP_2) | instskip(SKIP_1) | instid1(VALU_DEP_3)
	v_fma_f32 v14, -v29, v22, v15
	v_mul_f32_e32 v15, v26, v30
	v_exp_f32_e32 v23, v23
	s_delay_alu instid0(VALU_DEP_2)
	v_div_fmas_f32 v14, v14, v21, v22
	v_div_fixup_f32 v21, v13, v9, 1.0
	v_cvt_i32_f32_e32 v9, v12
	v_cmp_nlt_f32_e32 vcc_lo, 0x42ce8ed0, v5
	v_fma_f32 v24, -v25, v15, v26
	v_div_fixup_f32 v22, v14, v10, 1.0
	s_delay_alu instid0(TRANS32_DEP_1) | instid1(VALU_DEP_4)
	v_ldexp_f32 v9, v23, v9
	s_delay_alu instid0(VALU_DEP_3) | instskip(NEXT) | instid1(VALU_DEP_2)
	v_dual_add_f32 v4, 1.0, v4 :: v_dual_fmac_f32 v15, v24, v30
	v_cndmask_b32_e32 v9, 0, v9, vcc_lo
	s_delay_alu instid0(VALU_DEP_2) | instskip(NEXT) | instid1(VALU_DEP_3)
	v_div_scale_f32 v8, null, v4, v4, 1.0
	v_fma_f32 v13, -v25, v15, v26
	s_mov_b32 vcc_lo, s1
	v_div_scale_f32 v12, s0, 1.0, v4, 1.0
	s_delay_alu instid0(VALU_DEP_3) | instskip(NEXT) | instid1(VALU_DEP_2)
	v_rcp_f32_e32 v27, v8
	v_div_fmas_f32 v13, v13, v30, v15
	v_cmp_ngt_f32_e32 vcc_lo, 0xc2b17218, v5
	v_cndmask_b32_e32 v5, 0x7f800000, v9, vcc_lo
	v_mul_f32_e32 v10, 0xbfb8aa3b, v6
	v_cmp_nlt_f32_e32 vcc_lo, 0x42ce8ed0, v6
	s_waitcnt_depctr 0xfff
	v_fma_f32 v28, -v8, v27, 1.0
	v_add_f32_e32 v5, 1.0, v5
	v_rndne_f32_e32 v14, v10
	v_fma_f32 v23, 0xbfb8aa3b, v6, -v10
	s_delay_alu instid0(VALU_DEP_4) | instskip(NEXT) | instid1(VALU_DEP_4)
	v_fmac_f32_e32 v27, v28, v27
	v_div_scale_f32 v25, null, v5, v5, 1.0
	s_delay_alu instid0(VALU_DEP_4) | instskip(NEXT) | instid1(VALU_DEP_3)
	v_sub_f32_e32 v10, v10, v14
	v_dual_mul_f32 v24, v12, v27 :: v_dual_fmac_f32 v23, 0xb2a5705f, v6
	v_cvt_i32_f32_e32 v14, v14
	s_delay_alu instid0(VALU_DEP_4) | instskip(NEXT) | instid1(VALU_DEP_2)
	v_rcp_f32_e32 v29, v25
	v_fma_f32 v15, -v8, v24, v12
	s_delay_alu instid0(VALU_DEP_1) | instskip(NEXT) | instid1(VALU_DEP_1)
	v_dual_fmac_f32 v24, v15, v27 :: v_dual_mul_f32 v15, 0xbfb8aa3b, v0
	v_fma_f32 v28, 0xbfb8aa3b, v0, -v15
	v_add_f32_e32 v9, v10, v23
	v_rndne_f32_e32 v26, v15
	v_mul_f32_e32 v10, 0xbfb8aa3b, v7
	v_div_fixup_f32 v23, v13, v11, 1.0
	v_fmac_f32_e32 v28, 0xb2a5705f, v0
	v_exp_f32_e32 v9, v9
	s_delay_alu instid0(VALU_DEP_3) | instskip(SKIP_1) | instid1(VALU_DEP_2)
	v_rndne_f32_e32 v11, v10
	v_fma_f32 v13, 0xbfb8aa3b, v7, -v10
	v_sub_f32_e32 v10, v10, v11
	s_waitcnt_depctr 0xfff
	v_ldexp_f32 v9, v9, v14
	s_delay_alu instid0(VALU_DEP_1) | instskip(SKIP_2) | instid1(VALU_DEP_3)
	v_cndmask_b32_e32 v9, 0, v9, vcc_lo
	v_cmp_ngt_f32_e32 vcc_lo, 0xc2b17218, v6
	v_fma_f32 v8, -v8, v24, v12
	v_cndmask_b32_e32 v6, 0x7f800000, v9, vcc_lo
	v_fmac_f32_e32 v13, 0xb2a5705f, v7
	v_cvt_i32_f32_e32 v9, v11
	s_mov_b32 vcc_lo, s0
	v_cmp_ngt_f32_e64 s0, 0xc2b17218, v0
	v_add_f32_e32 v6, 1.0, v6
	v_dual_add_f32 v10, v10, v13 :: v_dual_sub_f32 v13, v15, v26
	v_div_fmas_f32 v8, v8, v27, v24
	v_cmp_nlt_f32_e32 vcc_lo, 0x42ce8ed0, v7
	s_delay_alu instid0(VALU_DEP_3) | instskip(NEXT) | instid1(VALU_DEP_2)
	v_exp_f32_e32 v10, v10
	v_div_fixup_f32 v24, v8, v4, 1.0
	s_waitcnt_depctr 0xfff
	v_ldexp_f32 v9, v10, v9
	v_add_f32_e32 v12, v13, v28
	v_cvt_i32_f32_e32 v10, v26
	v_mul_f32_e32 v26, 0xbfb8aa3b, v1
	v_fma_f32 v13, -v25, v29, 1.0
	v_cndmask_b32_e32 v9, 0, v9, vcc_lo
	v_exp_f32_e32 v11, v12
	v_cmp_ngt_f32_e32 vcc_lo, 0xc2b17218, v7
	v_rndne_f32_e32 v28, v26
	v_fmac_f32_e32 v29, v13, v29
	v_fma_f32 v30, 0xbfb8aa3b, v1, -v26
	v_cndmask_b32_e32 v7, 0x7f800000, v9, vcc_lo
	v_cmp_nlt_f32_e32 vcc_lo, 0x42ce8ed0, v0
	v_sub_f32_e32 v26, v26, v28
	s_delay_alu instid0(TRANS32_DEP_1) | instskip(SKIP_1) | instid1(VALU_DEP_2)
	v_ldexp_f32 v10, v11, v10
	v_div_scale_f32 v11, null, v6, v6, 1.0
	v_cndmask_b32_e32 v9, 0, v10, vcc_lo
	s_delay_alu instid0(VALU_DEP_2) | instskip(SKIP_1) | instid1(VALU_DEP_2)
	v_rcp_f32_e32 v12, v11
	v_div_scale_f32 v10, vcc_lo, 1.0, v5, 1.0
	v_cndmask_b32_e64 v0, 0x7f800000, v9, s0
	s_delay_alu instid0(VALU_DEP_1)
	v_add_f32_e32 v0, 1.0, v0
	s_waitcnt_depctr 0xfff
	v_fma_f32 v8, -v11, v12, 1.0
	v_mul_f32_e32 v9, v10, v29
	v_add_f32_e32 v7, 1.0, v7
	v_div_scale_f32 v15, null, v0, v0, 1.0
	s_delay_alu instid0(VALU_DEP_4) | instskip(NEXT) | instid1(VALU_DEP_4)
	v_fmac_f32_e32 v12, v8, v12
	v_fma_f32 v4, -v25, v9, v10
	v_div_scale_f32 v8, s0, 1.0, v6, 1.0
	s_delay_alu instid0(VALU_DEP_4) | instskip(SKIP_1) | instid1(VALU_DEP_3)
	v_rcp_f32_e32 v27, v15
	v_div_scale_f32 v13, null, v7, v7, 1.0
	v_fmac_f32_e32 v9, v4, v29
	s_delay_alu instid0(VALU_DEP_2) | instskip(NEXT) | instid1(VALU_DEP_1)
	v_rcp_f32_e32 v14, v13
	v_fma_f32 v10, -v25, v9, v10
	s_waitcnt_depctr 0xfff
	v_fma_f32 v40, -v15, v27, 1.0
	v_div_fmas_f32 v9, v10, v29, v9
	v_cmp_nlt_f32_e32 vcc_lo, 0x42ce8ed0, v1
	s_delay_alu instid0(VALU_DEP_3) | instskip(SKIP_4) | instid1(VALU_DEP_4)
	v_fmac_f32_e32 v27, v40, v27
	v_div_scale_f32 v40, s2, 1.0, v0, 1.0
	v_fmac_f32_e32 v30, 0xb2a5705f, v1
	v_mul_f32_e32 v4, v8, v12
	v_cvt_i32_f32_e32 v10, v28
	v_mul_f32_e32 v29, v40, v27
	v_fma_f32 v31, -v13, v14, 1.0
	v_add_f32_e32 v26, v26, v30
	v_fma_f32 v25, -v11, v4, v8
	s_delay_alu instid0(VALU_DEP_2) | instskip(NEXT) | instid1(VALU_DEP_1)
	v_exp_f32_e32 v26, v26
	v_fmac_f32_e32 v4, v25, v12
	v_div_fixup_f32 v25, v9, v5, 1.0
	v_fma_f32 v9, -v15, v29, v40
	v_fmac_f32_e32 v14, v31, v14
	v_div_scale_f32 v31, s1, 1.0, v7, 1.0
	v_fma_f32 v8, -v11, v4, v8
	s_delay_alu instid0(VALU_DEP_4) | instskip(NEXT) | instid1(TRANS32_DEP_1)
	v_fmac_f32_e32 v29, v9, v27
	v_ldexp_f32 v5, v26, v10
	s_delay_alu instid0(VALU_DEP_2) | instskip(NEXT) | instid1(VALU_DEP_2)
	v_fma_f32 v11, -v15, v29, v40
	v_cndmask_b32_e32 v5, 0, v5, vcc_lo
	s_mov_b32 vcc_lo, s0
	v_div_fmas_f32 v4, v8, v12, v4
	v_cmp_ngt_f32_e32 vcc_lo, 0xc2b17218, v1
	s_delay_alu instid0(VALU_DEP_2) | instskip(SKIP_3) | instid1(VALU_DEP_2)
	v_div_fixup_f32 v26, v4, v6, 1.0
	v_dual_cndmask_b32 v1, 0x7f800000, v5 :: v_dual_mul_f32 v30, v31, v14
	v_mul_f32_e32 v5, 0xbfb8aa3b, v2
	s_mov_b32 vcc_lo, s1
	v_add_f32_e32 v1, 1.0, v1
	s_delay_alu instid0(VALU_DEP_3) | instskip(NEXT) | instid1(VALU_DEP_3)
	v_fma_f32 v28, -v13, v30, v31
	v_rndne_f32_e32 v9, v5
	v_fma_f32 v10, 0xbfb8aa3b, v2, -v5
	s_delay_alu instid0(VALU_DEP_4) | instskip(NEXT) | instid1(VALU_DEP_3)
	v_div_scale_f32 v12, null, v1, v1, 1.0
	v_dual_fmac_f32 v30, v28, v14 :: v_dual_sub_f32 v5, v5, v9
	s_delay_alu instid0(VALU_DEP_3) | instskip(NEXT) | instid1(VALU_DEP_2)
	v_fmac_f32_e32 v10, 0xb2a5705f, v2
	v_fma_f32 v8, -v13, v30, v31
	s_delay_alu instid0(VALU_DEP_4) | instskip(NEXT) | instid1(VALU_DEP_2)
	v_rcp_f32_e32 v13, v12
	v_dual_add_f32 v5, v5, v10 :: v_dual_mul_f32 v10, 0xbfb8aa3b, v3
	s_delay_alu instid0(VALU_DEP_2) | instskip(SKIP_2) | instid1(VALU_DEP_3)
	v_div_fmas_f32 v8, v8, v14, v30
	s_mov_b32 vcc_lo, s2
	v_div_fmas_f32 v11, v11, v27, v29
	v_rndne_f32_e32 v4, v10
	v_mul_f32_e32 v6, 0xbfb8aa3b, v35
	v_div_fixup_f32 v27, v8, v7, 1.0
	v_cvt_i32_f32_e32 v8, v9
	v_div_fixup_f32 v28, v11, v0, 1.0
	v_sub_f32_e32 v9, v10, v4
	v_exp_f32_e32 v0, v5
	v_fma_f32 v5, 0xbfb8aa3b, v3, -v10
	v_rndne_f32_e32 v10, v6
	v_fma_f32 v11, 0xbfb8aa3b, v35, -v6
	v_cmp_nlt_f32_e32 vcc_lo, 0x42ce8ed0, v2
	v_fma_f32 v7, -v12, v13, 1.0
	v_fmac_f32_e32 v5, 0xb2a5705f, v3
	v_mul_f32_e32 v14, 0xbfb8aa3b, v36
	v_dual_sub_f32 v6, v6, v10 :: v_dual_fmac_f32 v11, 0xb2a5705f, v35
	s_delay_alu instid0(TRANS32_DEP_1) | instskip(NEXT) | instid1(VALU_DEP_4)
	v_ldexp_f32 v0, v0, v8
	v_add_f32_e32 v5, v9, v5
	s_delay_alu instid0(VALU_DEP_4)
	v_fma_f32 v9, 0xbfb8aa3b, v36, -v14
	v_cvt_i32_f32_e32 v4, v4
	v_add_f32_e32 v6, v6, v11
	v_dual_cndmask_b32 v0, 0, v0 :: v_dual_fmac_f32 v13, v7, v13
	v_exp_f32_e32 v5, v5
	v_fmac_f32_e32 v9, 0xb2a5705f, v36
	v_cmp_ngt_f32_e32 vcc_lo, 0xc2b17218, v2
	v_exp_f32_e32 v2, v6
	v_rndne_f32_e32 v8, v14
	v_cvt_i32_f32_e32 v7, v10
	v_cndmask_b32_e32 v0, 0x7f800000, v0, vcc_lo
	v_cmp_nlt_f32_e32 vcc_lo, 0x42ce8ed0, v3
	s_delay_alu instid0(TRANS32_DEP_2)
	v_ldexp_f32 v4, v5, v4
	s_waitcnt_depctr 0xfff
	v_ldexp_f32 v2, v2, v7
	v_cvt_i32_f32_e32 v7, v8
	v_cndmask_b32_e32 v4, 0, v4, vcc_lo
	v_cmp_nlt_f32_e32 vcc_lo, 0x42ce8ed0, v35
	s_delay_alu instid0(VALU_DEP_4) | instskip(SKIP_1) | instid1(VALU_DEP_2)
	v_dual_sub_f32 v11, v14, v8 :: v_dual_cndmask_b32 v2, 0, v2
	v_cmp_ngt_f32_e32 vcc_lo, 0xc2b17218, v3
	v_dual_add_f32 v6, v11, v9 :: v_dual_cndmask_b32 v3, 0x7f800000, v4
	s_delay_alu instid0(VALU_DEP_1) | instskip(SKIP_1) | instid1(VALU_DEP_2)
	v_exp_f32_e32 v5, v6
	v_cmp_ngt_f32_e32 vcc_lo, 0xc2b17218, v35
	v_dual_add_f32 v3, 1.0, v3 :: v_dual_cndmask_b32 v2, 0x7f800000, v2
	v_cmp_nlt_f32_e32 vcc_lo, 0x42ce8ed0, v36
	s_waitcnt_depctr 0xfff
	v_ldexp_f32 v4, v5, v7
	v_div_scale_f32 v7, null, v3, v3, 1.0
	s_delay_alu instid0(VALU_DEP_2) | instskip(SKIP_1) | instid1(VALU_DEP_3)
	v_cndmask_b32_e32 v4, 0, v4, vcc_lo
	v_cmp_ngt_f32_e32 vcc_lo, 0xc2b17218, v36
	v_rcp_f32_e32 v10, v7
	s_delay_alu instid0(VALU_DEP_2) | instskip(SKIP_2) | instid1(VALU_DEP_2)
	v_cndmask_b32_e32 v4, 0x7f800000, v4, vcc_lo
	v_div_scale_f32 v9, vcc_lo, 1.0, v1, 1.0
	v_add_f32_e32 v0, 1.0, v0
	v_dual_add_f32 v4, 1.0, v4 :: v_dual_mul_f32 v15, v9, v13
	s_waitcnt_depctr 0xfff
	v_fma_f32 v30, -v7, v10, 1.0
	v_div_scale_f32 v6, null, v0, v0, 1.0
	v_div_scale_f32 v29, null, v4, v4, 1.0
	v_fma_f32 v35, -v12, v15, v9
	s_delay_alu instid0(VALU_DEP_3) | instskip(SKIP_1) | instid1(VALU_DEP_3)
	v_rcp_f32_e32 v5, v6
	v_fmac_f32_e32 v10, v30, v10
	v_rcp_f32_e32 v31, v29
	v_div_scale_f32 v30, s1, 1.0, v3, 1.0
	s_delay_alu instid0(VALU_DEP_1)
	v_dual_fmac_f32 v15, v35, v13 :: v_dual_mul_f32 v42, v30, v10
	s_waitcnt_depctr 0xfff
	v_fma_f32 v11, -v6, v5, 1.0
	v_fma_f32 v9, -v12, v15, v9
	v_fma_f32 v41, -v29, v31, 1.0
	v_add_f32_e32 v2, 1.0, v2
	v_fma_f32 v12, -v7, v42, v30
	v_fmac_f32_e32 v5, v11, v5
	v_div_scale_f32 v11, s0, 1.0, v0, 1.0
	v_fmac_f32_e32 v31, v41, v31
	v_div_scale_f32 v8, null, v2, v2, 1.0
	s_delay_alu instid0(VALU_DEP_3) | instskip(SKIP_1) | instid1(VALU_DEP_3)
	v_mul_f32_e32 v40, v11, v5
	v_div_scale_f32 v41, s3, 1.0, v4, 1.0
	v_rcp_f32_e32 v14, v8
	v_fmac_f32_e32 v42, v12, v10
	s_delay_alu instid0(VALU_DEP_3) | instskip(NEXT) | instid1(VALU_DEP_3)
	v_fma_f32 v35, -v6, v40, v11
	v_mul_f32_e32 v44, v41, v31
	v_div_fmas_f32 v9, v9, v13, v15
	s_mov_b32 vcc_lo, s0
	s_delay_alu instid0(VALU_DEP_3) | instskip(SKIP_4) | instid1(VALU_DEP_3)
	v_fmac_f32_e32 v40, v35, v5
	s_waitcnt_depctr 0xfff
	v_fma_f32 v36, -v8, v14, 1.0
	v_fma_f32 v6, -v6, v40, v11
	v_fma_f32 v11, -v29, v44, v41
	v_fmac_f32_e32 v14, v36, v14
	v_div_scale_f32 v36, s2, 1.0, v2, 1.0
	s_delay_alu instid0(VALU_DEP_3) | instskip(SKIP_2) | instid1(VALU_DEP_4)
	v_fmac_f32_e32 v44, v11, v31
	v_div_fmas_f32 v5, v6, v5, v40
	v_fma_f32 v6, -v7, v42, v30
	v_mul_f32_e32 v43, v36, v14
	s_mov_b32 vcc_lo, s1
	s_delay_alu instid0(VALU_DEP_3) | instskip(NEXT) | instid1(VALU_DEP_3)
	v_div_fixup_f32 v30, v5, v0, 1.0
	v_div_fmas_f32 v6, v6, v10, v42
	s_delay_alu instid0(VALU_DEP_3) | instskip(SKIP_1) | instid1(VALU_DEP_1)
	v_fma_f32 v35, -v8, v43, v36
	s_mov_b32 vcc_lo, s2
	v_fmac_f32_e32 v43, v35, v14
	s_delay_alu instid0(VALU_DEP_1) | instskip(SKIP_2) | instid1(VALU_DEP_3)
	v_fma_f32 v7, -v8, v43, v36
	v_fma_f32 v8, -v29, v44, v41
	v_div_fixup_f32 v29, v9, v1, 1.0
	v_div_fmas_f32 v7, v7, v14, v43
	s_mov_b32 vcc_lo, s3
	s_delay_alu instid0(VALU_DEP_3) | instskip(SKIP_1) | instid1(VALU_DEP_3)
	v_div_fmas_f32 v8, v8, v31, v44
	v_div_fixup_f32 v31, v6, v3, 1.0
	v_div_fixup_f32 v40, v7, v2, 1.0
	s_clause 0x4
	scratch_store_b128 off, v[16:19], off
	scratch_store_b128 off, v[20:23], off offset:16
	scratch_store_b128 off, v[24:27], off offset:32
	;; [unrolled: 1-line block ×3, first 2 shown]
	scratch_store_b32 off, v40, off offset:64
	v_div_fixup_f32 v41, v8, v4, 1.0
.LBB21_6:
	v_dual_mov_b32 v12, v16 :: v_dual_mov_b32 v13, v17
	v_dual_mov_b32 v14, v18 :: v_dual_mov_b32 v15, v19
	;; [unrolled: 1-line block ×9, first 2 shown]
	scratch_store_b32 off, v41, off offset:68
.LBB21_7:
	s_mov_b32 s0, exec_lo
	v_cmpx_u_f32_e32 v12, v12
	s_cbranch_execz .LBB21_9
; %bb.8:
	v_mov_b32_e32 v12, 0xff7fffff
	scratch_store_b32 off, v12, off
.LBB21_9:
	s_or_b32 exec_lo, exec_lo, s0
	s_delay_alu instid0(SALU_CYCLE_1)
	s_mov_b32 s0, exec_lo
	v_cmpx_u_f32_e32 v13, v13
	s_cbranch_execz .LBB21_11
; %bb.10:
	v_mov_b32_e32 v12, 0xff7fffff
	scratch_store_b32 off, v12, off offset:4
.LBB21_11:
	s_or_b32 exec_lo, exec_lo, s0
	s_delay_alu instid0(SALU_CYCLE_1)
	s_mov_b32 s0, exec_lo
	v_cmpx_u_f32_e32 v14, v14
	s_cbranch_execz .LBB21_13
; %bb.12:
	v_mov_b32_e32 v12, 0xff7fffff
	scratch_store_b32 off, v12, off offset:8
.LBB21_13:
	;; [unrolled: 9-line block ×17, first 2 shown]
	s_or_b32 exec_lo, exec_lo, s0
	s_mov_b32 s0, 0
	s_waitcnt vmcnt(0)
	v_lshrrev_b16 v5, 8, v39
	s_mov_b32 s1, s0
	s_mov_b32 s2, s0
	;; [unrolled: 1-line block ×3, first 2 shown]
	v_mov_b32_e32 v4, 0
	v_dual_mov_b32 v0, s0 :: v_dual_mov_b32 v3, s3
	v_dual_mov_b32 v1, s1 :: v_dual_mov_b32 v2, s2
	v_readfirstlane_b32 s2, v5
	s_delay_alu instid0(VALU_DEP_4)
	v_mov_b32_e32 v5, v4
	s_cmp_gt_i32 s49, 0
	s_clause 0x4
	scratch_store_b128 off, v[0:3], off offset:80
	scratch_store_b128 off, v[0:3], off offset:96
	;; [unrolled: 1-line block ×4, first 2 shown]
	scratch_store_b64 off, v[4:5], off offset:144
	s_cbranch_scc1 .LBB21_45
; %bb.44:
	s_bitcmp1_b32 s2, 0
	s_mov_b32 s3, 0
	s_cselect_b32 s1, -1, 0
	s_branch .LBB21_46
.LBB21_45:
	s_mov_b32 s0, -1
                                        ; implicit-def: $sgpr3
                                        ; implicit-def: $sgpr1
.LBB21_46:
	v_dual_mov_b32 v2, s3 :: v_dual_add_nc_u32 v39, 32, v38
	v_add_nc_u32_e32 v36, 64, v38
	v_add_nc_u32_e32 v35, 0x60, v38
	;; [unrolled: 1-line block ×16, first 2 shown]
	v_mbcnt_lo_u32_b32 v5, -1, 0
	s_and_not1_b32 vcc_lo, exec_lo, s0
	s_cbranch_vccnz .LBB21_75
; %bb.47:
	s_delay_alu instid0(VALU_DEP_1) | instskip(SKIP_3) | instid1(VALU_DEP_4)
	v_xor_b32_e32 v2, 16, v5
	v_add_co_u32 v0, vcc_lo, s4, v33
	v_add_co_ci_u32_e32 v1, vcc_lo, s5, v34, vcc_lo
	v_xor_b32_e32 v3, 8, v5
	v_cmp_gt_i32_e32 vcc_lo, 32, v2
	v_xor_b32_e32 v4, 4, v5
	v_xor_b32_e32 v6, 2, v5
	s_bitcmp1_b32 s2, 0
	s_mov_b32 s2, 0
	v_cndmask_b32_e32 v2, v5, v2, vcc_lo
	v_cmp_gt_i32_e32 vcc_lo, 32, v3
	s_cselect_b32 s1, -1, 0
	v_cndmask_b32_e32 v7, v5, v3, vcc_lo
	v_cmp_gt_i32_e32 vcc_lo, 32, v4
	v_xor_b32_e32 v3, 1, v5
	v_cndmask_b32_e32 v8, v5, v4, vcc_lo
	v_cmp_gt_i32_e32 vcc_lo, 32, v6
	v_cndmask_b32_e32 v9, v5, v6, vcc_lo
	s_delay_alu instid0(VALU_DEP_4) | instskip(NEXT) | instid1(VALU_DEP_4)
	v_cmp_gt_i32_e32 vcc_lo, 32, v3
	v_lshlrev_b32_e32 v6, 2, v8
	v_lshlrev_b32_e32 v4, 2, v7
	s_delay_alu instid0(VALU_DEP_4) | instskip(SKIP_2) | instid1(VALU_DEP_3)
	v_dual_cndmask_b32 v10, v5, v3 :: v_dual_lshlrev_b32 v7, 2, v9
	v_mov_b32_e32 v9, 0xff800000
	v_dual_mov_b32 v2, 0 :: v_dual_lshlrev_b32 v3, 2, v2
	v_lshlrev_b32_e32 v8, 2, v10
	s_branch .LBB21_49
.LBB21_48:                              ;   in Loop: Header=BB21_49 Depth=1
	s_or_b32 exec_lo, exec_lo, s0
	v_add_co_u32 v0, vcc_lo, v0, 4
	v_add_co_ci_u32_e32 v1, vcc_lo, 0, v1, vcc_lo
	s_add_i32 s2, s2, 1
	s_delay_alu instid0(SALU_CYCLE_1)
	s_cmp_eq_u32 s49, s2
	s_cbranch_scc1 .LBB21_75
.LBB21_49:                              ; =>This Inner Loop Header: Depth=1
	s_waitcnt lgkmcnt(0)
	s_clause 0x4
	scratch_load_b128 v[10:13], off, off
	scratch_load_b128 v[14:17], off, off offset:16
	scratch_load_b128 v[40:43], off, off offset:32
	;; [unrolled: 1-line block ×3, first 2 shown]
	scratch_load_b64 v[33:34], off, off offset:64
	s_mov_b32 s4, exec_lo
	s_waitcnt vmcnt(4)
	v_cmp_gt_f32_e32 vcc_lo, v11, v10
	v_cndmask_b32_e32 v10, v10, v11, vcc_lo
	v_cndmask_b32_e32 v11, v38, v39, vcc_lo
	s_delay_alu instid0(VALU_DEP_2) | instskip(NEXT) | instid1(VALU_DEP_1)
	v_cmp_gt_f32_e64 s0, v12, v10
	v_cndmask_b32_e64 v10, v10, v12, s0
	s_delay_alu instid0(VALU_DEP_3) | instskip(NEXT) | instid1(VALU_DEP_2)
	v_cndmask_b32_e64 v11, v11, v36, s0
	v_cmp_gt_f32_e32 vcc_lo, v13, v10
	s_delay_alu instid0(VALU_DEP_2) | instskip(SKIP_1) | instid1(VALU_DEP_1)
	v_dual_cndmask_b32 v10, v10, v13 :: v_dual_cndmask_b32 v11, v11, v35
	s_waitcnt vmcnt(3)
	v_cmp_gt_f32_e64 s0, v14, v10
	s_delay_alu instid0(VALU_DEP_1) | instskip(NEXT) | instid1(VALU_DEP_3)
	v_cndmask_b32_e64 v10, v10, v14, s0
	v_cndmask_b32_e64 v11, v11, v31, s0
	s_delay_alu instid0(VALU_DEP_2) | instskip(NEXT) | instid1(VALU_DEP_2)
	v_cmp_gt_f32_e32 vcc_lo, v15, v10
	v_dual_cndmask_b32 v10, v10, v15 :: v_dual_cndmask_b32 v11, v11, v30
	s_delay_alu instid0(VALU_DEP_1) | instskip(NEXT) | instid1(VALU_DEP_1)
	v_cmp_gt_f32_e64 s0, v16, v10
	v_cndmask_b32_e64 v10, v10, v16, s0
	s_delay_alu instid0(VALU_DEP_3) | instskip(NEXT) | instid1(VALU_DEP_2)
	v_cndmask_b32_e64 v11, v11, v29, s0
	v_cmp_gt_f32_e32 vcc_lo, v17, v10
	s_delay_alu instid0(VALU_DEP_2) | instskip(SKIP_1) | instid1(VALU_DEP_1)
	v_dual_cndmask_b32 v11, v11, v28 :: v_dual_cndmask_b32 v10, v10, v17
	s_waitcnt vmcnt(2)
	v_cmp_gt_f32_e64 s0, v40, v10
	s_delay_alu instid0(VALU_DEP_1) | instskip(NEXT) | instid1(VALU_DEP_3)
	v_cndmask_b32_e64 v10, v10, v40, s0
	v_cndmask_b32_e64 v11, v11, v27, s0
	s_delay_alu instid0(VALU_DEP_2) | instskip(NEXT) | instid1(VALU_DEP_2)
	v_cmp_gt_f32_e32 vcc_lo, v41, v10
	v_dual_cndmask_b32 v11, v11, v26 :: v_dual_cndmask_b32 v10, v10, v41
	s_delay_alu instid0(VALU_DEP_1) | instskip(NEXT) | instid1(VALU_DEP_1)
	;; [unrolled: 16-line block ×3, first 2 shown]
	v_cmp_gt_f32_e64 s0, v46, v10
	v_cndmask_b32_e64 v10, v10, v46, s0
	s_delay_alu instid0(VALU_DEP_3) | instskip(NEXT) | instid1(VALU_DEP_2)
	v_cndmask_b32_e64 v11, v11, v21, s0
	v_cmp_gt_f32_e32 vcc_lo, v47, v10
	s_delay_alu instid0(VALU_DEP_2) | instskip(SKIP_1) | instid1(VALU_DEP_1)
	v_dual_cndmask_b32 v11, v11, v20 :: v_dual_cndmask_b32 v10, v10, v47
	s_waitcnt vmcnt(0)
	v_cmp_gt_f32_e64 s0, v33, v10
	s_delay_alu instid0(VALU_DEP_1) | instskip(NEXT) | instid1(VALU_DEP_3)
	v_cndmask_b32_e64 v10, v10, v33, s0
	v_cndmask_b32_e64 v11, v11, v19, s0
	s_delay_alu instid0(VALU_DEP_2) | instskip(NEXT) | instid1(VALU_DEP_2)
	v_cmp_gt_f32_e32 vcc_lo, v34, v10
	v_cndmask_b32_e32 v11, v11, v18, vcc_lo
	v_cndmask_b32_e32 v10, v10, v34, vcc_lo
	ds_bpermute_b32 v13, v3, v11
	ds_bpermute_b32 v12, v3, v10
	s_waitcnt lgkmcnt(0)
	v_cmp_lt_f32_e64 s3, v10, v12
	v_cmpx_nlt_f32_e32 v10, v12
; %bb.50:                               ;   in Loop: Header=BB21_49 Depth=1
	v_cmp_eq_f32_e32 vcc_lo, v10, v12
	v_cmp_lt_i32_e64 s0, v13, v11
	s_delay_alu instid0(VALU_DEP_4) | instskip(NEXT) | instid1(VALU_DEP_1)
	s_and_not1_b32 s3, s3, exec_lo
	s_and_b32 s0, vcc_lo, s0
	s_delay_alu instid0(SALU_CYCLE_1) | instskip(NEXT) | instid1(SALU_CYCLE_1)
	s_and_b32 s0, s0, exec_lo
	s_or_b32 s3, s3, s0
; %bb.51:                               ;   in Loop: Header=BB21_49 Depth=1
	s_or_b32 exec_lo, exec_lo, s4
	s_and_saveexec_b32 s0, s3
; %bb.52:                               ;   in Loop: Header=BB21_49 Depth=1
	v_dual_mov_b32 v10, v12 :: v_dual_mov_b32 v11, v13
; %bb.53:                               ;   in Loop: Header=BB21_49 Depth=1
	s_or_b32 exec_lo, exec_lo, s0
	ds_bpermute_b32 v13, v4, v10
	ds_bpermute_b32 v12, v4, v11
	s_mov_b32 s4, exec_lo
	s_waitcnt lgkmcnt(1)
	v_cmp_lt_f32_e64 s3, v10, v13
	v_cmpx_nlt_f32_e32 v10, v13
	s_cbranch_execz .LBB21_55
; %bb.54:                               ;   in Loop: Header=BB21_49 Depth=1
	v_cmp_eq_f32_e32 vcc_lo, v10, v13
	s_waitcnt lgkmcnt(0)
	v_cmp_lt_i32_e64 s0, v12, v11
	s_and_not1_b32 s3, s3, exec_lo
	s_delay_alu instid0(VALU_DEP_1) | instskip(NEXT) | instid1(SALU_CYCLE_1)
	s_and_b32 s0, vcc_lo, s0
	s_and_b32 s0, s0, exec_lo
	s_delay_alu instid0(SALU_CYCLE_1)
	s_or_b32 s3, s3, s0
.LBB21_55:                              ;   in Loop: Header=BB21_49 Depth=1
	s_or_b32 exec_lo, exec_lo, s4
	s_delay_alu instid0(VALU_DEP_2)
	s_and_saveexec_b32 s0, s3
	s_cbranch_execz .LBB21_57
; %bb.56:                               ;   in Loop: Header=BB21_49 Depth=1
	s_waitcnt lgkmcnt(0)
	v_dual_mov_b32 v10, v13 :: v_dual_mov_b32 v11, v12
.LBB21_57:                              ;   in Loop: Header=BB21_49 Depth=1
	s_or_b32 exec_lo, exec_lo, s0
	ds_bpermute_b32 v13, v6, v10
	s_waitcnt lgkmcnt(1)
	ds_bpermute_b32 v12, v6, v11
	s_mov_b32 s4, exec_lo
	s_waitcnt lgkmcnt(1)
	v_cmp_lt_f32_e64 s3, v10, v13
	v_cmpx_nlt_f32_e32 v10, v13
	s_cbranch_execz .LBB21_59
; %bb.58:                               ;   in Loop: Header=BB21_49 Depth=1
	v_cmp_eq_f32_e32 vcc_lo, v10, v13
	s_waitcnt lgkmcnt(0)
	v_cmp_lt_i32_e64 s0, v12, v11
	s_and_not1_b32 s3, s3, exec_lo
	s_delay_alu instid0(VALU_DEP_1) | instskip(NEXT) | instid1(SALU_CYCLE_1)
	s_and_b32 s0, vcc_lo, s0
	s_and_b32 s0, s0, exec_lo
	s_delay_alu instid0(SALU_CYCLE_1)
	s_or_b32 s3, s3, s0
.LBB21_59:                              ;   in Loop: Header=BB21_49 Depth=1
	s_or_b32 exec_lo, exec_lo, s4
	s_delay_alu instid0(VALU_DEP_2)
	s_and_saveexec_b32 s0, s3
	s_cbranch_execz .LBB21_61
; %bb.60:                               ;   in Loop: Header=BB21_49 Depth=1
	s_waitcnt lgkmcnt(0)
	v_dual_mov_b32 v10, v13 :: v_dual_mov_b32 v11, v12
.LBB21_61:                              ;   in Loop: Header=BB21_49 Depth=1
	s_or_b32 exec_lo, exec_lo, s0
	ds_bpermute_b32 v13, v7, v10
	s_waitcnt lgkmcnt(1)
	ds_bpermute_b32 v12, v7, v11
	s_mov_b32 s4, exec_lo
	s_waitcnt lgkmcnt(1)
	v_cmp_lt_f32_e64 s3, v10, v13
	v_cmpx_nlt_f32_e32 v10, v13
	s_cbranch_execz .LBB21_63
; %bb.62:                               ;   in Loop: Header=BB21_49 Depth=1
	v_cmp_eq_f32_e32 vcc_lo, v10, v13
	s_waitcnt lgkmcnt(0)
	v_cmp_lt_i32_e64 s0, v12, v11
	s_and_not1_b32 s3, s3, exec_lo
	s_delay_alu instid0(VALU_DEP_1) | instskip(NEXT) | instid1(SALU_CYCLE_1)
	s_and_b32 s0, vcc_lo, s0
	s_and_b32 s0, s0, exec_lo
	s_delay_alu instid0(SALU_CYCLE_1)
	s_or_b32 s3, s3, s0
.LBB21_63:                              ;   in Loop: Header=BB21_49 Depth=1
	s_or_b32 exec_lo, exec_lo, s4
	s_delay_alu instid0(VALU_DEP_2)
	s_and_saveexec_b32 s0, s3
	s_cbranch_execz .LBB21_65
; %bb.64:                               ;   in Loop: Header=BB21_49 Depth=1
	s_waitcnt lgkmcnt(0)
	v_dual_mov_b32 v10, v13 :: v_dual_mov_b32 v11, v12
.LBB21_65:                              ;   in Loop: Header=BB21_49 Depth=1
	s_or_b32 exec_lo, exec_lo, s0
	s_waitcnt lgkmcnt(0)
	ds_bpermute_b32 v12, v8, v10
	ds_bpermute_b32 v13, v8, v11
	s_mov_b32 s4, exec_lo
	s_waitcnt lgkmcnt(1)
	v_cmp_lt_f32_e64 s3, v10, v12
	v_cmpx_nlt_f32_e32 v10, v12
	s_cbranch_execz .LBB21_67
; %bb.66:                               ;   in Loop: Header=BB21_49 Depth=1
	v_cmp_eq_f32_e32 vcc_lo, v10, v12
	s_waitcnt lgkmcnt(0)
	v_cmp_lt_i32_e64 s0, v13, v11
	s_and_not1_b32 s3, s3, exec_lo
	s_delay_alu instid0(VALU_DEP_1) | instskip(NEXT) | instid1(SALU_CYCLE_1)
	s_and_b32 s0, vcc_lo, s0
	s_and_b32 s0, s0, exec_lo
	s_delay_alu instid0(SALU_CYCLE_1)
	s_or_b32 s3, s3, s0
.LBB21_67:                              ;   in Loop: Header=BB21_49 Depth=1
	s_or_b32 exec_lo, exec_lo, s4
	s_delay_alu instid0(VALU_DEP_2)
	s_and_saveexec_b32 s0, s3
	s_cbranch_execz .LBB21_69
; %bb.68:                               ;   in Loop: Header=BB21_49 Depth=1
	s_waitcnt lgkmcnt(0)
	v_dual_mov_b32 v10, v12 :: v_dual_mov_b32 v11, v13
.LBB21_69:                              ;   in Loop: Header=BB21_49 Depth=1
	s_or_b32 exec_lo, exec_lo, s0
	s_delay_alu instid0(VALU_DEP_1) | instskip(NEXT) | instid1(VALU_DEP_1)
	v_and_b32_e32 v12, 31, v11
	v_cmp_eq_u32_e32 vcc_lo, v12, v38
	s_and_saveexec_b32 s0, vcc_lo
	s_cbranch_execz .LBB21_71
; %bb.70:                               ;   in Loop: Header=BB21_49 Depth=1
	v_ashrrev_i32_e32 v12, 31, v11
	s_delay_alu instid0(VALU_DEP_1) | instskip(NEXT) | instid1(VALU_DEP_1)
	v_lshrrev_b32_e32 v12, 27, v12
	v_add_nc_u32_e32 v12, v11, v12
	s_delay_alu instid0(VALU_DEP_1) | instskip(NEXT) | instid1(VALU_DEP_1)
	v_ashrrev_i32_e32 v12, 5, v12
	v_lshl_add_u32 v12, v12, 2, 0
	scratch_store_b32 v12, v9, off
.LBB21_71:                              ;   in Loop: Header=BB21_49 Depth=1
	s_or_b32 exec_lo, exec_lo, s0
	s_and_b32 s0, s2, 31
	s_mov_b32 s3, exec_lo
	v_cmpx_eq_u32_e64 s0, v38
	s_cbranch_execz .LBB21_73
; %bb.72:                               ;   in Loop: Header=BB21_49 Depth=1
	s_lshr_b32 s0, s2, 3
	s_delay_alu instid0(SALU_CYCLE_1) | instskip(NEXT) | instid1(SALU_CYCLE_1)
	s_and_b32 s0, s0, 0x1ffffffc
	s_addk_i32 s0, 0x50
	scratch_store_b32 off, v10, s0
.LBB21_73:                              ;   in Loop: Header=BB21_49 Depth=1
	s_or_b32 exec_lo, exec_lo, s3
	s_and_saveexec_b32 s0, vcc_lo
	s_cbranch_execz .LBB21_48
; %bb.74:                               ;   in Loop: Header=BB21_49 Depth=1
	v_add_f32_e32 v10, v2, v10
	global_store_b32 v[0:1], v11, off
	v_cndmask_b32_e64 v2, v2, v10, s1
	s_branch .LBB21_48
.LBB21_75:
	s_and_b32 vcc_lo, exec_lo, s1
	s_cbranch_vccz .LBB21_77
; %bb.76:
	scratch_load_b128 v[6:9], off, off offset:80
	s_waitcnt lgkmcnt(0)
	s_clause 0x3
	scratch_load_b128 v[10:13], off, off offset:96
	scratch_load_b128 v[14:17], off, off offset:112
	;; [unrolled: 1-line block ×3, first 2 shown]
	scratch_load_b64 v[33:34], off, off offset:144
	v_xor_b32_e32 v0, 16, v5
	v_xor_b32_e32 v1, 8, v5
	s_delay_alu instid0(VALU_DEP_2) | instskip(SKIP_1) | instid1(VALU_DEP_3)
	v_cmp_gt_i32_e32 vcc_lo, 32, v0
	v_cndmask_b32_e32 v0, v5, v0, vcc_lo
	v_cmp_gt_i32_e32 vcc_lo, 32, v1
	v_cndmask_b32_e32 v1, v5, v1, vcc_lo
	s_delay_alu instid0(VALU_DEP_1) | instskip(NEXT) | instid1(VALU_DEP_4)
	v_lshlrev_b32_e32 v1, 2, v1
	v_lshlrev_b32_e32 v0, 2, v0
	ds_bpermute_b32 v0, v0, v2
	s_waitcnt lgkmcnt(0)
	v_add_f32_e32 v0, v2, v0
	v_xor_b32_e32 v2, 4, v5
	ds_bpermute_b32 v1, v1, v0
	v_cmp_gt_i32_e32 vcc_lo, 32, v2
	v_cndmask_b32_e32 v2, v5, v2, vcc_lo
	s_delay_alu instid0(VALU_DEP_1) | instskip(SKIP_4) | instid1(VALU_DEP_1)
	v_lshlrev_b32_e32 v2, 2, v2
	s_waitcnt lgkmcnt(0)
	v_add_f32_e32 v0, v0, v1
	ds_bpermute_b32 v1, v2, v0
	v_xor_b32_e32 v2, 2, v5
	v_cmp_gt_i32_e32 vcc_lo, 32, v2
	v_cndmask_b32_e32 v2, v5, v2, vcc_lo
	s_delay_alu instid0(VALU_DEP_1) | instskip(SKIP_4) | instid1(VALU_DEP_1)
	v_lshlrev_b32_e32 v2, 2, v2
	s_waitcnt lgkmcnt(0)
	v_add_f32_e32 v0, v0, v1
	ds_bpermute_b32 v1, v2, v0
	v_xor_b32_e32 v2, 1, v5
	v_cmp_gt_i32_e32 vcc_lo, 32, v2
	v_cndmask_b32_e32 v2, v5, v2, vcc_lo
	s_delay_alu instid0(VALU_DEP_1)
	v_lshlrev_b32_e32 v2, 2, v2
	s_waitcnt lgkmcnt(0)
	v_add_f32_e32 v0, v0, v1
	ds_bpermute_b32 v1, v2, v0
	v_max_f32_e64 v2, s50, s50
	s_waitcnt lgkmcnt(0)
	v_add_f32_e32 v0, v0, v1
	s_delay_alu instid0(VALU_DEP_1) | instskip(NEXT) | instid1(VALU_DEP_1)
	v_max_f32_e32 v0, v0, v2
	v_div_scale_f32 v1, null, v0, v0, 1.0
	v_div_scale_f32 v4, vcc_lo, 1.0, v0, 1.0
	s_delay_alu instid0(VALU_DEP_2) | instskip(SKIP_2) | instid1(VALU_DEP_1)
	v_rcp_f32_e32 v2, v1
	s_waitcnt_depctr 0xfff
	v_fma_f32 v3, -v1, v2, 1.0
	v_fmac_f32_e32 v2, v3, v2
	s_delay_alu instid0(VALU_DEP_1) | instskip(NEXT) | instid1(VALU_DEP_1)
	v_mul_f32_e32 v3, v4, v2
	v_fma_f32 v44, -v1, v3, v4
	s_delay_alu instid0(VALU_DEP_1) | instskip(NEXT) | instid1(VALU_DEP_1)
	v_fmac_f32_e32 v3, v44, v2
	v_fma_f32 v1, -v1, v3, v4
	s_delay_alu instid0(VALU_DEP_1) | instskip(NEXT) | instid1(VALU_DEP_1)
	v_div_fmas_f32 v1, v1, v2, v3
	v_div_fixup_f32 v4, v1, v0, 1.0
	s_waitcnt vmcnt(4)
	s_delay_alu instid0(VALU_DEP_1)
	v_mul_f32_e32 v0, v4, v6
	v_mul_f32_e32 v1, v4, v7
	;; [unrolled: 1-line block ×4, first 2 shown]
	s_waitcnt vmcnt(3)
	v_mul_f32_e32 v6, v4, v10
	v_mul_f32_e32 v7, v4, v11
	;; [unrolled: 1-line block ×4, first 2 shown]
	s_waitcnt vmcnt(2)
	v_mul_f32_e32 v10, v4, v14
	v_mul_f32_e32 v11, v4, v15
	s_waitcnt vmcnt(1)
	v_mul_f32_e32 v15, v4, v41
	v_mul_f32_e32 v12, v4, v16
	;; [unrolled: 1-line block ×6, first 2 shown]
	s_waitcnt vmcnt(0)
	v_mul_f32_e32 v33, v4, v33
	v_mul_f32_e32 v34, v4, v34
	s_clause 0x4
	scratch_store_b128 off, v[0:3], off offset:80
	scratch_store_b128 off, v[6:9], off offset:96
	;; [unrolled: 1-line block ×4, first 2 shown]
	scratch_store_b64 off, v[33:34], off offset:144
.LBB21_77:
	v_cmp_gt_i32_e64 s16, s49, v39
	v_cmp_gt_i32_e64 s15, s49, v36
	;; [unrolled: 1-line block ×18, first 2 shown]
	s_and_not1_b32 vcc_lo, exec_lo, s18
	s_cbranch_vccnz .LBB21_98
; %bb.78:
	scratch_load_b128 v[6:9], off, off offset:80
	s_waitcnt lgkmcnt(0)
	s_clause 0x3
	scratch_load_b128 v[10:13], off, off offset:96
	scratch_load_b128 v[14:17], off, off offset:112
	;; [unrolled: 1-line block ×3, first 2 shown]
	scratch_load_b64 v[33:34], off, off offset:144
	s_waitcnt vmcnt(4)
	v_dual_max_f32 v0, v6, v6 :: v_dual_max_f32 v1, v7, v7
	v_max_f32_e32 v2, v8, v8
	s_delay_alu instid0(VALU_DEP_2) | instskip(NEXT) | instid1(VALU_DEP_1)
	v_max_f32_e32 v0, 0xff800000, v0
	v_cndmask_b32_e64 v0, 0xff800000, v0, s17
	s_delay_alu instid0(VALU_DEP_1) | instskip(NEXT) | instid1(VALU_DEP_1)
	v_max_f32_e32 v1, v0, v1
	v_cndmask_b32_e64 v0, v0, v1, s16
	s_delay_alu instid0(VALU_DEP_1) | instskip(NEXT) | instid1(VALU_DEP_1)
	v_dual_max_f32 v1, v0, v2 :: v_dual_max_f32 v2, v9, v9
	v_cndmask_b32_e64 v0, v0, v1, s15
	s_delay_alu instid0(VALU_DEP_1) | instskip(SKIP_2) | instid1(VALU_DEP_2)
	v_max_f32_e32 v1, v0, v2
	s_waitcnt vmcnt(3)
	v_max_f32_e32 v2, v10, v10
	v_cndmask_b32_e64 v0, v0, v1, s14
	s_delay_alu instid0(VALU_DEP_1) | instskip(NEXT) | instid1(VALU_DEP_1)
	v_max_f32_e32 v1, v0, v2
	v_cndmask_b32_e64 v0, v0, v1, s13
	s_delay_alu instid0(VALU_DEP_1) | instskip(NEXT) | instid1(VALU_DEP_1)
	v_dual_max_f32 v1, v11, v11 :: v_dual_max_f32 v2, v0, v0
	v_max_f32_e32 v1, v2, v1
	s_delay_alu instid0(VALU_DEP_1) | instskip(SKIP_1) | instid1(VALU_DEP_2)
	v_cndmask_b32_e64 v0, v0, v1, s12
	v_max_f32_e32 v1, v12, v12
	v_max_f32_e32 v2, v0, v0
	s_delay_alu instid0(VALU_DEP_1) | instskip(NEXT) | instid1(VALU_DEP_1)
	v_max_f32_e32 v1, v2, v1
	v_cndmask_b32_e64 v0, v0, v1, s11
	s_delay_alu instid0(VALU_DEP_1) | instskip(NEXT) | instid1(VALU_DEP_1)
	v_dual_max_f32 v1, v13, v13 :: v_dual_max_f32 v2, v0, v0
	v_max_f32_e32 v1, v2, v1
	s_delay_alu instid0(VALU_DEP_1) | instskip(SKIP_1) | instid1(VALU_DEP_1)
	v_cndmask_b32_e64 v0, v0, v1, s10
	s_waitcnt vmcnt(2)
	v_dual_max_f32 v1, v14, v14 :: v_dual_max_f32 v2, v0, v0
	s_delay_alu instid0(VALU_DEP_1) | instskip(NEXT) | instid1(VALU_DEP_1)
	v_max_f32_e32 v1, v2, v1
	v_cndmask_b32_e64 v0, v0, v1, s9
	s_delay_alu instid0(VALU_DEP_1) | instskip(NEXT) | instid1(VALU_DEP_1)
	v_dual_max_f32 v1, v15, v15 :: v_dual_max_f32 v2, v0, v0
	v_max_f32_e32 v1, v2, v1
	s_delay_alu instid0(VALU_DEP_1) | instskip(SKIP_1) | instid1(VALU_DEP_2)
	v_cndmask_b32_e64 v0, v0, v1, s8
	v_max_f32_e32 v1, v16, v16
	v_max_f32_e32 v2, v0, v0
	s_delay_alu instid0(VALU_DEP_1) | instskip(NEXT) | instid1(VALU_DEP_1)
	v_max_f32_e32 v1, v2, v1
	v_cndmask_b32_e64 v0, v0, v1, s7
	s_delay_alu instid0(VALU_DEP_1) | instskip(NEXT) | instid1(VALU_DEP_1)
	v_dual_max_f32 v1, v17, v17 :: v_dual_max_f32 v2, v0, v0
	v_max_f32_e32 v1, v2, v1
	s_delay_alu instid0(VALU_DEP_1) | instskip(SKIP_2) | instid1(VALU_DEP_2)
	v_cndmask_b32_e64 v0, v0, v1, s6
	s_waitcnt vmcnt(1)
	v_max_f32_e32 v1, v40, v40
	v_max_f32_e32 v2, v0, v0
	s_delay_alu instid0(VALU_DEP_1) | instskip(NEXT) | instid1(VALU_DEP_1)
	v_max_f32_e32 v1, v2, v1
	v_cndmask_b32_e64 v0, v0, v1, s5
	s_delay_alu instid0(VALU_DEP_1) | instskip(NEXT) | instid1(VALU_DEP_1)
	v_dual_max_f32 v1, v41, v41 :: v_dual_max_f32 v2, v0, v0
	v_max_f32_e32 v1, v2, v1
	s_delay_alu instid0(VALU_DEP_1) | instskip(NEXT) | instid1(VALU_DEP_1)
	v_cndmask_b32_e64 v0, v0, v1, s4
	v_dual_max_f32 v1, v42, v42 :: v_dual_max_f32 v2, v0, v0
	s_delay_alu instid0(VALU_DEP_1) | instskip(NEXT) | instid1(VALU_DEP_1)
	v_max_f32_e32 v1, v2, v1
	v_cndmask_b32_e64 v0, v0, v1, s3
	s_delay_alu instid0(VALU_DEP_1) | instskip(NEXT) | instid1(VALU_DEP_1)
	v_dual_max_f32 v1, v43, v43 :: v_dual_max_f32 v2, v0, v0
	v_max_f32_e32 v1, v2, v1
	s_delay_alu instid0(VALU_DEP_1) | instskip(SKIP_1) | instid1(VALU_DEP_1)
	v_cndmask_b32_e64 v0, v0, v1, s2
	s_waitcnt vmcnt(0)
	v_dual_max_f32 v1, v33, v33 :: v_dual_max_f32 v2, v0, v0
	s_delay_alu instid0(VALU_DEP_1) | instskip(SKIP_1) | instid1(VALU_DEP_2)
	v_max_f32_e32 v1, v2, v1
	v_xor_b32_e32 v2, 16, v5
	v_cndmask_b32_e64 v0, v0, v1, s1
	s_delay_alu instid0(VALU_DEP_2) | instskip(SKIP_1) | instid1(VALU_DEP_3)
	v_cmp_gt_i32_e32 vcc_lo, 32, v2
	v_max_f32_e32 v1, v34, v34
	v_dual_max_f32 v3, v0, v0 :: v_dual_cndmask_b32 v2, v5, v2
	s_delay_alu instid0(VALU_DEP_1) | instskip(NEXT) | instid1(VALU_DEP_2)
	v_max_f32_e32 v3, v3, v1
	v_lshlrev_b32_e32 v1, 2, v2
	s_delay_alu instid0(VALU_DEP_2)
	v_cndmask_b32_e64 v0, v0, v3, s0
	v_xor_b32_e32 v3, 8, v5
	ds_bpermute_b32 v2, v1, v0
	v_cmp_gt_i32_e32 vcc_lo, 32, v3
	v_dual_max_f32 v0, v0, v0 :: v_dual_cndmask_b32 v3, v5, v3
	s_waitcnt lgkmcnt(0)
	v_max_f32_e32 v4, v2, v2
	s_delay_alu instid0(VALU_DEP_2) | instskip(NEXT) | instid1(VALU_DEP_2)
	v_lshlrev_b32_e32 v2, 2, v3
	v_max_f32_e32 v0, v0, v4
	v_xor_b32_e32 v4, 4, v5
	ds_bpermute_b32 v3, v2, v0
	v_cmp_gt_i32_e32 vcc_lo, 32, v4
	v_cndmask_b32_e32 v4, v5, v4, vcc_lo
	s_waitcnt lgkmcnt(0)
	s_delay_alu instid0(VALU_DEP_1) | instskip(NEXT) | instid1(VALU_DEP_1)
	v_dual_max_f32 v44, v3, v3 :: v_dual_lshlrev_b32 v3, 2, v4
	v_max_f32_e32 v0, v0, v44
	v_xor_b32_e32 v44, 2, v5
	ds_bpermute_b32 v4, v3, v0
	v_cmp_gt_i32_e32 vcc_lo, 32, v44
	v_cndmask_b32_e32 v44, v5, v44, vcc_lo
	s_waitcnt lgkmcnt(0)
	v_max_f32_e32 v45, v4, v4
	s_delay_alu instid0(VALU_DEP_2) | instskip(NEXT) | instid1(VALU_DEP_2)
	v_lshlrev_b32_e32 v4, 2, v44
	v_max_f32_e32 v0, v0, v45
	v_xor_b32_e32 v45, 1, v5
	ds_bpermute_b32 v44, v4, v0
	v_cmp_gt_i32_e32 vcc_lo, 32, v45
	v_cndmask_b32_e32 v5, v5, v45, vcc_lo
	s_waitcnt lgkmcnt(0)
	s_delay_alu instid0(VALU_DEP_1) | instskip(NEXT) | instid1(VALU_DEP_1)
	v_dual_max_f32 v44, v44, v44 :: v_dual_lshlrev_b32 v5, 2, v5
	v_max_f32_e32 v0, v0, v44
	ds_bpermute_b32 v44, v5, v0
	s_waitcnt lgkmcnt(0)
	v_max_f32_e32 v44, v44, v44
	s_delay_alu instid0(VALU_DEP_1) | instskip(NEXT) | instid1(VALU_DEP_1)
	v_max_f32_e32 v44, v0, v44
	v_sub_f32_e32 v0, v6, v44
	v_sub_f32_e32 v6, v7, v44
	;; [unrolled: 1-line block ×8, first 2 shown]
	v_mul_f32_e32 v46, 0x3fb8aa3b, v8
	v_mul_f32_e32 v60, 0x3fb8aa3b, v34
	v_dual_sub_f32 v12, v13, v44 :: v_dual_mul_f32 v47, 0x3fb8aa3b, v9
	v_sub_f32_e32 v13, v14, v44
	s_delay_alu instid0(VALU_DEP_4)
	v_fma_f32 v67, 0x3fb8aa3b, v8, -v46
	v_rndne_f32_e32 v68, v46
	v_sub_f32_e32 v14, v15, v44
	v_fma_f32 v69, 0x3fb8aa3b, v9, -v47
	v_sub_f32_e32 v15, v16, v44
	v_sub_f32_e32 v16, v17, v44
	;; [unrolled: 1-line block ×4, first 2 shown]
	v_cmp_ngt_f32_e64 s23, 0xc2ce8ed0, v8
	v_cmp_nlt_f32_e64 s24, 0x42b17218, v8
	v_fmac_f32_e32 v67, 0x32a5705f, v8
	v_dual_sub_f32 v8, v46, v68 :: v_dual_fmac_f32 v69, 0x32a5705f, v9
	v_sub_f32_e32 v41, v42, v44
	v_sub_f32_e32 v42, v43, v44
	v_dual_sub_f32 v43, v33, v44 :: v_dual_mul_f32 v44, 0x3fb8aa3b, v6
	v_cmp_ngt_f32_e32 vcc_lo, 0xc2ce8ed0, v0
	v_cmp_ngt_f32_e64 s18, 0xc2ce8ed0, v6
	s_delay_alu instid0(VALU_DEP_4) | instskip(NEXT) | instid1(VALU_DEP_4)
	v_dual_mul_f32 v58, 0x3fb8aa3b, v42 :: v_dual_mul_f32 v45, 0x3fb8aa3b, v7
	v_fma_f32 v63, 0x3fb8aa3b, v6, -v44
	v_rndne_f32_e32 v64, v44
	v_cmp_nlt_f32_e64 s20, 0x42b17218, v6
	v_cmp_ngt_f32_e64 s21, 0xc2ce8ed0, v7
	v_fma_f32 v65, 0x3fb8aa3b, v7, -v45
	v_rndne_f32_e32 v66, v45
	v_mul_f32_e32 v50, 0x3fb8aa3b, v12
	v_cmp_nlt_f32_e64 s22, 0x42b17218, v7
	v_dual_fmac_f32 v63, 0x32a5705f, v6 :: v_dual_sub_f32 v6, v44, v64
	v_fmac_f32_e32 v65, 0x32a5705f, v7
	v_dual_sub_f32 v7, v45, v66 :: v_dual_add_f32 v8, v8, v67
	v_cvt_i32_f32_e32 v46, v66
	s_delay_alu instid0(VALU_DEP_4) | instskip(SKIP_1) | instid1(VALU_DEP_4)
	v_add_f32_e32 v6, v6, v63
	v_dual_mul_f32 v53, 0x3fb8aa3b, v15 :: v_dual_mul_f32 v56, 0x3fb8aa3b, v40
	v_add_f32_e32 v7, v7, v65
	v_exp_f32_e32 v8, v8
	v_cmp_nlt_f32_e64 s19, 0x42b17218, v0
	v_exp_f32_e32 v6, v6
	v_cvt_i32_f32_e32 v64, v64
	v_exp_f32_e32 v7, v7
	v_mul_f32_e32 v48, 0x3fb8aa3b, v10
	v_rndne_f32_e32 v70, v47
	v_cmp_ngt_f32_e64 s25, 0xc2ce8ed0, v9
	v_cmp_nlt_f32_e64 s26, 0x42b17218, v9
	v_cmp_ngt_f32_e64 s27, 0xc2ce8ed0, v10
	v_fma_f32 v71, 0x3fb8aa3b, v10, -v48
	v_cmp_nlt_f32_e64 s28, 0x42b17218, v10
	v_ldexp_f32 v6, v6, v64
	v_rndne_f32_e32 v76, v50
	v_ldexp_f32 v7, v7, v46
	v_cvt_i32_f32_e32 v46, v68
	v_fmac_f32_e32 v71, 0x32a5705f, v10
	v_cndmask_b32_e64 v6, 0, v6, s18
	v_fma_f32 v87, 0x3fb8aa3b, v40, -v56
	v_cndmask_b32_e64 v7, 0, v7, s21
	v_ldexp_f32 v8, v8, v46
	v_rndne_f32_e32 v82, v53
	v_cndmask_b32_e64 v6, 0x7f800000, v6, s20
	v_cvt_i32_f32_e32 v46, v70
	v_cndmask_b32_e64 v7, 0x7f800000, v7, s22
	v_cndmask_b32_e64 v8, 0, v8, s23
	v_fmac_f32_e32 v87, 0x32a5705f, v40
	v_fma_f32 v75, 0x3fb8aa3b, v12, -v50
	v_sub_f32_e32 v9, v47, v70
	v_cmp_ngt_f32_e64 s31, 0xc2ce8ed0, v12
	v_cndmask_b32_e64 v8, 0x7f800000, v8, s24
	v_mul_f32_e32 v33, 0x3fb8aa3b, v0
	v_cmp_nlt_f32_e64 s33, 0x42b17218, v12
	v_fmac_f32_e32 v75, 0x32a5705f, v12
	v_rndne_f32_e32 v72, v48
	v_fma_f32 v81, 0x3fb8aa3b, v15, -v53
	v_fma_f32 v61, 0x3fb8aa3b, v0, -v33
	v_rndne_f32_e32 v62, v33
	v_cmp_ngt_f32_e64 s38, 0xc2ce8ed0, v15
	v_cmp_nlt_f32_e64 s39, 0x42b17218, v15
	v_mul_f32_e32 v57, 0x3fb8aa3b, v41
	s_delay_alu instid0(VALU_DEP_4) | instskip(SKIP_3) | instid1(VALU_DEP_4)
	v_dual_fmac_f32 v61, 0x32a5705f, v0 :: v_dual_sub_f32 v0, v33, v62
	v_cvt_i32_f32_e32 v33, v62
	v_dual_mul_f32 v49, 0x3fb8aa3b, v11 :: v_dual_mul_f32 v52, 0x3fb8aa3b, v14
	v_cmp_ngt_f32_e64 s29, 0xc2ce8ed0, v11
	v_add_f32_e32 v0, v0, v61
	v_dual_mul_f32 v51, 0x3fb8aa3b, v13 :: v_dual_mul_f32 v54, 0x3fb8aa3b, v16
	s_delay_alu instid0(VALU_DEP_4) | instskip(SKIP_1) | instid1(VALU_DEP_4)
	v_fma_f32 v73, 0x3fb8aa3b, v11, -v49
	v_fma_f32 v79, 0x3fb8aa3b, v14, -v52
	v_exp_f32_e32 v0, v0
	v_cmp_nlt_f32_e64 s30, 0x42b17218, v11
	v_fma_f32 v77, 0x3fb8aa3b, v13, -v51
	v_fmac_f32_e32 v73, 0x32a5705f, v11
	v_fmac_f32_e32 v79, 0x32a5705f, v14
	v_fma_f32 v83, 0x3fb8aa3b, v16, -v54
	v_cmp_ngt_f32_e64 s34, 0xc2ce8ed0, v13
	v_cmp_nlt_f32_e64 s35, 0x42b17218, v13
	v_rndne_f32_e32 v74, v49
	v_rndne_f32_e32 v80, v52
	v_ldexp_f32 v0, v0, v33
	v_fmac_f32_e32 v83, 0x32a5705f, v16
	v_fmac_f32_e32 v77, 0x32a5705f, v13
	v_rndne_f32_e32 v78, v51
	v_rndne_f32_e32 v84, v54
	v_cndmask_b32_e32 v0, 0, v0, vcc_lo
	v_cmp_ngt_f32_e64 s36, 0xc2ce8ed0, v14
	v_cmp_nlt_f32_e64 s37, 0x42b17218, v14
	v_cmp_ngt_f32_e64 s40, 0xc2ce8ed0, v16
	v_cmp_nlt_f32_e64 s41, 0x42b17218, v16
	v_cndmask_b32_e64 v33, 0x7f800000, v0, s19
	v_cmp_ngt_f32_e64 s44, 0xc2ce8ed0, v40
	v_cmp_nlt_f32_e64 s45, 0x42b17218, v40
	v_fma_f32 v89, 0x3fb8aa3b, v41, -v57
	v_cmp_ngt_f32_e64 s46, 0xc2ce8ed0, v41
	v_cndmask_b32_e64 v0, 0, v33, s17
	v_add_f32_e32 v9, v9, v69
	v_cmp_nlt_f32_e64 s47, 0x42b17218, v41
	v_fmac_f32_e32 v89, 0x32a5705f, v41
	v_rndne_f32_e32 v88, v56
	v_add_f32_e32 v10, v6, v0
	v_exp_f32_e32 v9, v9
	v_rndne_f32_e32 v90, v57
	v_rndne_f32_e32 v61, v58
	v_fma_f32 v45, 0x3fb8aa3b, v34, -v60
	v_cndmask_b32_e64 v10, v0, v10, s16
	v_rndne_f32_e32 v62, v60
	s_delay_alu instid0(VALU_DEP_3) | instskip(NEXT) | instid1(VALU_DEP_3)
	v_fmac_f32_e32 v45, 0x32a5705f, v34
	v_add_f32_e32 v11, v7, v10
	s_delay_alu instid0(TRANS32_DEP_1) | instskip(NEXT) | instid1(VALU_DEP_2)
	v_ldexp_f32 v9, v9, v46
	v_cndmask_b32_e64 v10, v10, v11, s15
	s_delay_alu instid0(VALU_DEP_2) | instskip(SKIP_1) | instid1(VALU_DEP_3)
	v_cndmask_b32_e64 v9, 0, v9, s25
	v_cvt_i32_f32_e32 v11, v72
	v_add_f32_e32 v12, v8, v10
	s_delay_alu instid0(VALU_DEP_3) | instskip(NEXT) | instid1(VALU_DEP_2)
	v_cndmask_b32_e64 v9, 0x7f800000, v9, s26
	v_cndmask_b32_e64 v10, v10, v12, s14
	v_cvt_i32_f32_e32 v12, v74
	s_delay_alu instid0(VALU_DEP_2) | instskip(NEXT) | instid1(VALU_DEP_1)
	v_add_f32_e32 v13, v9, v10
	v_cndmask_b32_e64 v10, v10, v13, s13
	v_dual_sub_f32 v47, v48, v72 :: v_dual_sub_f32 v48, v49, v74
	v_cvt_i32_f32_e32 v13, v76
	v_mul_f32_e32 v55, 0x3fb8aa3b, v17
	v_fma_f32 v44, 0x3fb8aa3b, v42, -v58
	v_cmp_ngt_f32_e64 s42, 0xc2ce8ed0, v17
	v_add_f32_e32 v46, v48, v73
	v_dual_sub_f32 v48, v50, v76 :: v_dual_add_f32 v47, v47, v71
	s_delay_alu instid0(VALU_DEP_4) | instskip(SKIP_1) | instid1(VALU_DEP_4)
	v_fmac_f32_e32 v44, 0x32a5705f, v42
	v_fma_f32 v85, 0x3fb8aa3b, v17, -v55
	v_exp_f32_e32 v46, v46
	v_rndne_f32_e32 v86, v55
	v_exp_f32_e32 v47, v47
	v_cmp_nlt_f32_e64 s43, 0x42b17218, v17
	v_mul_f32_e32 v59, 0x3fb8aa3b, v43
	v_cmp_ngt_f32_e64 s48, 0xc2ce8ed0, v42
	v_cmp_nlt_f32_e32 vcc_lo, 0x42b17218, v42
	v_cmp_ngt_f32_e64 s18, 0xc2ce8ed0, v43
	s_delay_alu instid0(VALU_DEP_4) | instskip(NEXT) | instid1(TRANS32_DEP_2)
	v_fma_f32 v91, 0x3fb8aa3b, v43, -v59
	v_ldexp_f32 v12, v46, v12
	v_rndne_f32_e32 v63, v59
	s_delay_alu instid0(TRANS32_DEP_1) | instskip(SKIP_1) | instid1(VALU_DEP_4)
	v_ldexp_f32 v11, v47, v11
	v_dual_add_f32 v47, v48, v75 :: v_dual_sub_f32 v48, v51, v78
	v_cndmask_b32_e64 v12, 0, v12, s29
	v_fmac_f32_e32 v91, 0x32a5705f, v43
	s_delay_alu instid0(VALU_DEP_4) | instskip(NEXT) | instid1(VALU_DEP_4)
	v_cndmask_b32_e64 v11, 0, v11, s27
	v_exp_f32_e32 v47, v47
	v_add_f32_e32 v46, v48, v77
	v_sub_f32_e32 v48, v52, v80
	s_delay_alu instid0(VALU_DEP_3) | instskip(NEXT) | instid1(VALU_DEP_3)
	v_cndmask_b32_e64 v11, 0x7f800000, v11, s28
	v_exp_f32_e32 v46, v46
	s_delay_alu instid0(VALU_DEP_1)
	v_add_f32_e32 v14, v11, v10
	s_waitcnt_depctr 0xfff
	v_ldexp_f32 v13, v47, v13
	v_cndmask_b32_e64 v47, 0x7f800000, v12, s30
	v_cvt_i32_f32_e32 v12, v78
	v_cndmask_b32_e64 v10, v10, v14, s12
	s_delay_alu instid0(VALU_DEP_4) | instskip(SKIP_1) | instid1(VALU_DEP_4)
	v_cndmask_b32_e64 v13, 0, v13, s31
	v_add_f32_e32 v14, v48, v79
	v_ldexp_f32 v12, v46, v12
	v_sub_f32_e32 v48, v53, v82
	s_delay_alu instid0(VALU_DEP_4) | instskip(NEXT) | instid1(VALU_DEP_4)
	v_cndmask_b32_e64 v46, 0x7f800000, v13, s33
	v_exp_f32_e32 v14, v14
	s_delay_alu instid0(VALU_DEP_3) | instskip(SKIP_1) | instid1(VALU_DEP_2)
	v_cndmask_b32_e64 v12, 0, v12, s34
	v_cvt_i32_f32_e32 v13, v80
	v_cndmask_b32_e64 v49, 0x7f800000, v12, s35
	v_fmac_f32_e32 v81, 0x32a5705f, v15
	v_add_f32_e32 v15, v47, v10
	v_cvt_i32_f32_e32 v12, v82
	s_delay_alu instid0(TRANS32_DEP_1) | instskip(NEXT) | instid1(VALU_DEP_3)
	v_ldexp_f32 v13, v14, v13
	v_cndmask_b32_e64 v10, v10, v15, s11
	s_delay_alu instid0(VALU_DEP_2) | instskip(NEXT) | instid1(VALU_DEP_2)
	v_cndmask_b32_e64 v13, 0, v13, s36
	v_add_f32_e32 v16, v46, v10
	s_delay_alu instid0(VALU_DEP_1) | instskip(NEXT) | instid1(VALU_DEP_1)
	v_cndmask_b32_e64 v10, v10, v16, s10
	v_dual_add_f32 v16, v49, v10 :: v_dual_add_f32 v15, v48, v81
	v_sub_f32_e32 v48, v54, v84
	s_delay_alu instid0(VALU_DEP_2) | instskip(NEXT) | instid1(VALU_DEP_3)
	v_cndmask_b32_e64 v10, v10, v16, s9
	v_exp_f32_e32 v15, v15
	s_delay_alu instid0(VALU_DEP_2) | instskip(SKIP_2) | instid1(VALU_DEP_3)
	v_add_f32_e32 v14, v48, v83
	v_cndmask_b32_e64 v48, 0x7f800000, v13, s37
	v_cvt_i32_f32_e32 v13, v84
	v_exp_f32_e32 v14, v14
	s_delay_alu instid0(VALU_DEP_2) | instskip(SKIP_3) | instid1(VALU_DEP_2)
	v_add_f32_e32 v16, v48, v10
	s_waitcnt_depctr 0xfff
	v_ldexp_f32 v12, v15, v12
	v_cndmask_b32_e64 v10, v10, v16, s8
	v_cndmask_b32_e64 v12, 0, v12, s38
	v_ldexp_f32 v13, v14, v13
	s_delay_alu instid0(VALU_DEP_2) | instskip(SKIP_1) | instid1(VALU_DEP_3)
	v_cndmask_b32_e64 v40, 0x7f800000, v12, s39
	v_fmac_f32_e32 v85, 0x32a5705f, v17
	v_cndmask_b32_e64 v13, 0, v13, s40
	v_sub_f32_e32 v17, v55, v86
	v_cvt_i32_f32_e32 v12, v86
	v_add_f32_e32 v16, v40, v10
	s_delay_alu instid0(VALU_DEP_4) | instskip(SKIP_1) | instid1(VALU_DEP_3)
	v_cndmask_b32_e64 v41, 0x7f800000, v13, s41
	v_cvt_i32_f32_e32 v13, v88
	v_cndmask_b32_e64 v10, v10, v16, s7
	s_delay_alu instid0(VALU_DEP_1) | instskip(NEXT) | instid1(VALU_DEP_1)
	v_add_f32_e32 v16, v41, v10
	v_cndmask_b32_e64 v10, v10, v16, s6
	v_add_f32_e32 v15, v17, v85
	v_sub_f32_e32 v17, v56, v88
	s_delay_alu instid0(VALU_DEP_2) | instskip(NEXT) | instid1(VALU_DEP_1)
	v_exp_f32_e32 v15, v15
	v_add_f32_e32 v14, v17, v87
	v_sub_f32_e32 v17, v57, v90
	s_delay_alu instid0(VALU_DEP_2) | instskip(SKIP_4) | instid1(VALU_DEP_3)
	v_exp_f32_e32 v14, v14
	s_waitcnt_depctr 0xfff
	v_ldexp_f32 v12, v15, v12
	v_add_f32_e32 v15, v17, v89
	v_sub_f32_e32 v17, v58, v61
	v_cndmask_b32_e64 v12, 0, v12, s42
	s_delay_alu instid0(VALU_DEP_3) | instskip(SKIP_1) | instid1(VALU_DEP_3)
	v_exp_f32_e32 v15, v15
	v_ldexp_f32 v13, v14, v13
	v_dual_add_f32 v14, v17, v44 :: v_dual_sub_f32 v17, v59, v63
	s_delay_alu instid0(VALU_DEP_3) | instskip(SKIP_1) | instid1(VALU_DEP_4)
	v_cndmask_b32_e64 v50, 0x7f800000, v12, s43
	v_cvt_i32_f32_e32 v12, v90
	v_cndmask_b32_e64 v13, 0, v13, s44
	s_delay_alu instid0(VALU_DEP_4) | instskip(NEXT) | instid1(VALU_DEP_3)
	v_exp_f32_e32 v14, v14
	v_add_f32_e32 v16, v50, v10
	s_delay_alu instid0(TRANS32_DEP_2) | instid1(VALU_DEP_3)
	v_ldexp_f32 v12, v15, v12
	s_delay_alu instid0(VALU_DEP_3)
	v_cndmask_b32_e64 v44, 0x7f800000, v13, s45
	v_cvt_i32_f32_e32 v13, v61
	v_add_f32_e32 v15, v17, v91
	v_cndmask_b32_e64 v10, v10, v16, s5
	v_cndmask_b32_e64 v12, 0, v12, s46
	v_sub_f32_e32 v17, v60, v62
	s_delay_alu instid0(TRANS32_DEP_1)
	v_ldexp_f32 v13, v14, v13
	v_exp_f32_e32 v15, v15
	v_add_f32_e32 v16, v44, v10
	v_cndmask_b32_e64 v51, 0x7f800000, v12, s47
	v_add_f32_e32 v12, v17, v45
	v_cvt_i32_f32_e32 v14, v63
	v_cndmask_b32_e64 v13, 0, v13, s48
	v_cndmask_b32_e64 v10, v10, v16, s4
	s_delay_alu instid0(VALU_DEP_4)
	v_exp_f32_e32 v12, v12
	s_delay_alu instid0(TRANS32_DEP_2) | instid1(VALU_DEP_3)
	v_ldexp_f32 v14, v15, v14
	s_delay_alu instid0(VALU_DEP_2) | instskip(SKIP_2) | instid1(VALU_DEP_4)
	v_dual_add_f32 v16, v51, v10 :: v_dual_cndmask_b32 v17, 0x7f800000, v13
	v_cmp_nlt_f32_e32 vcc_lo, 0x42b17218, v43
	v_cvt_i32_f32_e32 v13, v62
	v_cndmask_b32_e64 v14, 0, v14, s18
	s_delay_alu instid0(VALU_DEP_4)
	v_cndmask_b32_e64 v10, v10, v16, s3
	v_cmp_ngt_f32_e64 s18, 0xc2ce8ed0, v34
	s_delay_alu instid0(TRANS32_DEP_1) | instid1(VALU_DEP_4)
	v_ldexp_f32 v12, v12, v13
	s_delay_alu instid0(VALU_DEP_4) | instskip(NEXT) | instid1(VALU_DEP_4)
	v_cndmask_b32_e32 v16, 0x7f800000, v14, vcc_lo
	v_add_f32_e32 v15, v17, v10
	v_cmp_nlt_f32_e32 vcc_lo, 0x42b17218, v34
	v_cndmask_b32_e64 v14, 0, v47, s11
	v_cndmask_b32_e64 v12, 0, v12, s18
	s_delay_alu instid0(VALU_DEP_4) | instskip(SKIP_1) | instid1(VALU_DEP_2)
	v_cndmask_b32_e64 v10, v10, v15, s2
	v_cndmask_b32_e64 v15, 0, v46, s10
	v_dual_cndmask_b32 v34, 0x7f800000, v12 :: v_dual_add_f32 v13, v16, v10
	v_cndmask_b32_e64 v16, 0, v16, s1
	s_delay_alu instid0(VALU_DEP_2) | instskip(SKIP_2) | instid1(VALU_DEP_3)
	v_cndmask_b32_e64 v10, v10, v13, s1
	v_cndmask_b32_e64 v13, 0, v11, s12
	;; [unrolled: 1-line block ×3, first 2 shown]
	v_add_f32_e32 v12, v34, v10
	s_delay_alu instid0(VALU_DEP_1)
	v_cndmask_b32_e64 v10, v10, v12, s0
	v_cndmask_b32_e64 v12, 0, v9, s13
	;; [unrolled: 1-line block ×3, first 2 shown]
	ds_bpermute_b32 v1, v1, v10
	s_waitcnt lgkmcnt(0)
	v_add_f32_e32 v1, v10, v1
	v_cndmask_b32_e64 v10, 0, v40, s7
	ds_bpermute_b32 v2, v2, v1
	s_waitcnt lgkmcnt(0)
	v_add_f32_e32 v1, v1, v2
	ds_bpermute_b32 v2, v3, v1
	v_cndmask_b32_e64 v3, 0, v8, s14
	v_cndmask_b32_e64 v8, 0, v49, s9
	s_waitcnt lgkmcnt(0)
	v_add_f32_e32 v1, v1, v2
	ds_bpermute_b32 v2, v4, v1
	s_waitcnt lgkmcnt(0)
	v_add_f32_e32 v1, v1, v2
	ds_bpermute_b32 v2, v5, v1
	s_waitcnt lgkmcnt(0)
	v_add_f32_e32 v42, v1, v2
	v_cndmask_b32_e64 v2, 0, v7, s15
	v_cndmask_b32_e64 v7, 0, v17, s2
	;; [unrolled: 1-line block ×3, first 2 shown]
	s_delay_alu instid0(VALU_DEP_4) | instskip(SKIP_1) | instid1(VALU_DEP_2)
	v_div_scale_f32 v4, null, v42, v42, 1.0
	v_div_scale_f32 v5, vcc_lo, 1.0, v42, 1.0
	v_rcp_f32_e32 v43, v4
	s_waitcnt_depctr 0xfff
	v_fma_f32 v1, -v4, v43, 1.0
	s_delay_alu instid0(VALU_DEP_1) | instskip(SKIP_1) | instid1(VALU_DEP_2)
	v_fmac_f32_e32 v43, v1, v43
	v_cndmask_b32_e64 v1, 0, v6, s16
	v_mul_f32_e32 v45, v5, v43
	s_delay_alu instid0(VALU_DEP_1) | instskip(NEXT) | instid1(VALU_DEP_1)
	v_fma_f32 v6, -v4, v45, v5
	v_fmac_f32_e32 v45, v6, v43
	s_delay_alu instid0(VALU_DEP_1) | instskip(SKIP_2) | instid1(VALU_DEP_3)
	v_fma_f32 v6, -v4, v45, v5
	v_cndmask_b32_e64 v4, 0, v50, s5
	v_cndmask_b32_e64 v5, 0, v44, s4
	v_div_fmas_f32 v40, v6, v43, v45
	v_cndmask_b32_e64 v6, 0, v51, s3
	s_clause 0x4
	scratch_store_b128 off, v[0:3], off offset:80
	scratch_store_b128 off, v[12:15], off offset:96
	scratch_store_b128 off, v[8:11], off offset:112
	scratch_store_b128 off, v[4:7], off offset:128
	scratch_store_b64 off, v[16:17], off offset:144
	v_div_fixup_f32 v34, v40, v42, 1.0
	s_and_saveexec_b32 s18, s17
	s_cbranch_execnz .LBB21_135
; %bb.79:
	s_or_b32 exec_lo, exec_lo, s18
	s_and_saveexec_b32 s17, s16
	s_cbranch_execnz .LBB21_136
.LBB21_80:
	s_or_b32 exec_lo, exec_lo, s17
	s_and_saveexec_b32 s16, s15
	s_cbranch_execnz .LBB21_137
.LBB21_81:
	s_or_b32 exec_lo, exec_lo, s16
	s_and_saveexec_b32 s15, s14
	s_cbranch_execnz .LBB21_138
.LBB21_82:
	s_or_b32 exec_lo, exec_lo, s15
	s_and_saveexec_b32 s14, s13
	s_cbranch_execnz .LBB21_139
.LBB21_83:
	s_or_b32 exec_lo, exec_lo, s14
	s_and_saveexec_b32 s13, s12
	s_cbranch_execnz .LBB21_140
.LBB21_84:
	s_or_b32 exec_lo, exec_lo, s13
	s_and_saveexec_b32 s12, s11
	s_cbranch_execnz .LBB21_141
.LBB21_85:
	s_or_b32 exec_lo, exec_lo, s12
	s_and_saveexec_b32 s11, s10
	s_cbranch_execnz .LBB21_142
.LBB21_86:
	s_or_b32 exec_lo, exec_lo, s11
	s_and_saveexec_b32 s10, s9
	s_cbranch_execnz .LBB21_143
.LBB21_87:
	s_or_b32 exec_lo, exec_lo, s10
	s_and_saveexec_b32 s9, s8
	s_cbranch_execnz .LBB21_144
.LBB21_88:
	s_or_b32 exec_lo, exec_lo, s9
	s_and_saveexec_b32 s8, s7
	s_cbranch_execnz .LBB21_145
.LBB21_89:
	s_or_b32 exec_lo, exec_lo, s8
	s_and_saveexec_b32 s7, s6
	s_cbranch_execnz .LBB21_146
.LBB21_90:
	s_or_b32 exec_lo, exec_lo, s7
	s_and_saveexec_b32 s6, s5
	s_cbranch_execnz .LBB21_147
.LBB21_91:
	s_or_b32 exec_lo, exec_lo, s6
	s_and_saveexec_b32 s5, s4
	s_cbranch_execnz .LBB21_148
.LBB21_92:
	s_or_b32 exec_lo, exec_lo, s5
	s_and_saveexec_b32 s4, s3
	s_cbranch_execnz .LBB21_149
.LBB21_93:
	s_or_b32 exec_lo, exec_lo, s4
	s_and_saveexec_b32 s3, s2
	s_cbranch_execnz .LBB21_150
.LBB21_94:
	s_or_b32 exec_lo, exec_lo, s3
	s_and_saveexec_b32 s2, s1
	s_cbranch_execnz .LBB21_151
.LBB21_95:
	s_or_b32 exec_lo, exec_lo, s2
	s_and_saveexec_b32 s1, s0
	s_cbranch_execz .LBB21_97
.LBB21_96:
	v_mul_f32_e32 v0, v17, v34
	scratch_store_b32 off, v0, off offset:148
.LBB21_97:
	s_or_b32 exec_lo, exec_lo, s1
.LBB21_98:
	v_mul_lo_u32 v0, v32, s49
	s_mov_b32 s0, exec_lo
	s_delay_alu instid0(VALU_DEP_1) | instskip(NEXT) | instid1(VALU_DEP_1)
	v_ashrrev_i32_e32 v1, 31, v0
	v_lshlrev_b64 v[0:1], 2, v[0:1]
	s_delay_alu instid0(VALU_DEP_1) | instskip(NEXT) | instid1(VALU_DEP_2)
	v_add_co_u32 v0, vcc_lo, s54, v0
	v_add_co_ci_u32_e32 v1, vcc_lo, s55, v1, vcc_lo
	v_cmpx_gt_i32_e64 s49, v38
	s_cbranch_execnz .LBB21_118
; %bb.99:
	s_or_b32 exec_lo, exec_lo, s0
	s_delay_alu instid0(SALU_CYCLE_1)
	s_mov_b32 s0, exec_lo
	v_cmpx_gt_i32_e64 s49, v39
	s_cbranch_execnz .LBB21_119
.LBB21_100:
	s_or_b32 exec_lo, exec_lo, s0
	s_delay_alu instid0(SALU_CYCLE_1)
	s_mov_b32 s0, exec_lo
	v_cmpx_gt_i32_e64 s49, v36
	s_cbranch_execnz .LBB21_120
.LBB21_101:
	s_or_b32 exec_lo, exec_lo, s0
	s_delay_alu instid0(SALU_CYCLE_1)
	s_mov_b32 s0, exec_lo
	v_cmpx_gt_i32_e64 s49, v35
	s_cbranch_execnz .LBB21_121
.LBB21_102:
	s_or_b32 exec_lo, exec_lo, s0
	s_delay_alu instid0(SALU_CYCLE_1)
	s_mov_b32 s0, exec_lo
	v_cmpx_gt_i32_e64 s49, v31
	s_cbranch_execnz .LBB21_122
.LBB21_103:
	s_or_b32 exec_lo, exec_lo, s0
	s_delay_alu instid0(SALU_CYCLE_1)
	s_mov_b32 s0, exec_lo
	v_cmpx_gt_i32_e64 s49, v30
	s_cbranch_execnz .LBB21_123
.LBB21_104:
	s_or_b32 exec_lo, exec_lo, s0
	s_delay_alu instid0(SALU_CYCLE_1)
	s_mov_b32 s0, exec_lo
	v_cmpx_gt_i32_e64 s49, v29
	s_cbranch_execnz .LBB21_124
.LBB21_105:
	s_or_b32 exec_lo, exec_lo, s0
	s_delay_alu instid0(SALU_CYCLE_1)
	s_mov_b32 s0, exec_lo
	v_cmpx_gt_i32_e64 s49, v28
	s_cbranch_execnz .LBB21_125
.LBB21_106:
	s_or_b32 exec_lo, exec_lo, s0
	s_delay_alu instid0(SALU_CYCLE_1)
	s_mov_b32 s0, exec_lo
	v_cmpx_gt_i32_e64 s49, v27
	s_cbranch_execnz .LBB21_126
.LBB21_107:
	s_or_b32 exec_lo, exec_lo, s0
	s_delay_alu instid0(SALU_CYCLE_1)
	s_mov_b32 s0, exec_lo
	v_cmpx_gt_i32_e64 s49, v26
	s_cbranch_execnz .LBB21_127
.LBB21_108:
	s_or_b32 exec_lo, exec_lo, s0
	s_delay_alu instid0(SALU_CYCLE_1)
	s_mov_b32 s0, exec_lo
	v_cmpx_gt_i32_e64 s49, v25
	s_cbranch_execnz .LBB21_128
.LBB21_109:
	s_or_b32 exec_lo, exec_lo, s0
	s_delay_alu instid0(SALU_CYCLE_1)
	s_mov_b32 s0, exec_lo
	v_cmpx_gt_i32_e64 s49, v24
	s_cbranch_execnz .LBB21_129
.LBB21_110:
	s_or_b32 exec_lo, exec_lo, s0
	s_delay_alu instid0(SALU_CYCLE_1)
	s_mov_b32 s0, exec_lo
	v_cmpx_gt_i32_e64 s49, v23
	s_cbranch_execnz .LBB21_130
.LBB21_111:
	s_or_b32 exec_lo, exec_lo, s0
	s_delay_alu instid0(SALU_CYCLE_1)
	s_mov_b32 s0, exec_lo
	v_cmpx_gt_i32_e64 s49, v22
	s_cbranch_execnz .LBB21_131
.LBB21_112:
	s_or_b32 exec_lo, exec_lo, s0
	s_delay_alu instid0(SALU_CYCLE_1)
	s_mov_b32 s0, exec_lo
	v_cmpx_gt_i32_e64 s49, v21
	s_cbranch_execnz .LBB21_132
.LBB21_113:
	s_or_b32 exec_lo, exec_lo, s0
	s_delay_alu instid0(SALU_CYCLE_1)
	s_mov_b32 s0, exec_lo
	v_cmpx_gt_i32_e64 s49, v20
	s_cbranch_execnz .LBB21_133
.LBB21_114:
	s_or_b32 exec_lo, exec_lo, s0
	s_delay_alu instid0(SALU_CYCLE_1)
	s_mov_b32 s0, exec_lo
	v_cmpx_gt_i32_e64 s49, v19
	s_cbranch_execnz .LBB21_134
.LBB21_115:
	s_or_b32 exec_lo, exec_lo, s0
	v_cmp_gt_i32_e32 vcc_lo, s49, v18
	s_and_b32 exec_lo, exec_lo, vcc_lo
	s_cbranch_execz .LBB21_117
.LBB21_116:
	scratch_load_b32 v2, off, off offset:148
	v_add_co_u32 v0, vcc_lo, v0, v37
	v_add_co_ci_u32_e32 v1, vcc_lo, 0, v1, vcc_lo
	s_waitcnt vmcnt(0)
	v_mul_f32_e32 v2, s51, v2
	global_store_b32 v[0:1], v2, off offset:2176
.LBB21_117:
	s_endpgm
.LBB21_118:
	scratch_load_b32 v4, off, off offset:80
	v_add_co_u32 v2, vcc_lo, v0, v37
	v_add_co_ci_u32_e32 v3, vcc_lo, 0, v1, vcc_lo
	s_waitcnt vmcnt(0)
	v_mul_f32_e32 v4, s51, v4
	global_store_b32 v[2:3], v4, off
	s_or_b32 exec_lo, exec_lo, s0
	s_delay_alu instid0(SALU_CYCLE_1)
	s_mov_b32 s0, exec_lo
	v_cmpx_gt_i32_e64 s49, v39
	s_cbranch_execz .LBB21_100
.LBB21_119:
	scratch_load_b32 v4, off, off offset:84
	v_add_co_u32 v2, vcc_lo, v0, v37
	v_add_co_ci_u32_e32 v3, vcc_lo, 0, v1, vcc_lo
	s_waitcnt vmcnt(0)
	v_mul_f32_e32 v4, s51, v4
	global_store_b32 v[2:3], v4, off offset:128
	s_or_b32 exec_lo, exec_lo, s0
	s_delay_alu instid0(SALU_CYCLE_1)
	s_mov_b32 s0, exec_lo
	v_cmpx_gt_i32_e64 s49, v36
	s_cbranch_execz .LBB21_101
.LBB21_120:
	scratch_load_b32 v4, off, off offset:88
	v_add_co_u32 v2, vcc_lo, v0, v37
	v_add_co_ci_u32_e32 v3, vcc_lo, 0, v1, vcc_lo
	s_waitcnt vmcnt(0)
	v_mul_f32_e32 v4, s51, v4
	global_store_b32 v[2:3], v4, off offset:256
	s_or_b32 exec_lo, exec_lo, s0
	s_delay_alu instid0(SALU_CYCLE_1)
	s_mov_b32 s0, exec_lo
	v_cmpx_gt_i32_e64 s49, v35
	s_cbranch_execz .LBB21_102
.LBB21_121:
	scratch_load_b32 v4, off, off offset:92
	v_add_co_u32 v2, vcc_lo, v0, v37
	v_add_co_ci_u32_e32 v3, vcc_lo, 0, v1, vcc_lo
	s_waitcnt vmcnt(0)
	v_mul_f32_e32 v4, s51, v4
	global_store_b32 v[2:3], v4, off offset:384
	s_or_b32 exec_lo, exec_lo, s0
	s_delay_alu instid0(SALU_CYCLE_1)
	s_mov_b32 s0, exec_lo
	v_cmpx_gt_i32_e64 s49, v31
	s_cbranch_execz .LBB21_103
.LBB21_122:
	scratch_load_b32 v4, off, off offset:96
	v_add_co_u32 v2, vcc_lo, v0, v37
	v_add_co_ci_u32_e32 v3, vcc_lo, 0, v1, vcc_lo
	s_waitcnt vmcnt(0)
	v_mul_f32_e32 v4, s51, v4
	global_store_b32 v[2:3], v4, off offset:512
	s_or_b32 exec_lo, exec_lo, s0
	s_delay_alu instid0(SALU_CYCLE_1)
	s_mov_b32 s0, exec_lo
	v_cmpx_gt_i32_e64 s49, v30
	s_cbranch_execz .LBB21_104
.LBB21_123:
	scratch_load_b32 v4, off, off offset:100
	v_add_co_u32 v2, vcc_lo, v0, v37
	v_add_co_ci_u32_e32 v3, vcc_lo, 0, v1, vcc_lo
	s_waitcnt vmcnt(0)
	v_mul_f32_e32 v4, s51, v4
	global_store_b32 v[2:3], v4, off offset:640
	s_or_b32 exec_lo, exec_lo, s0
	s_delay_alu instid0(SALU_CYCLE_1)
	s_mov_b32 s0, exec_lo
	v_cmpx_gt_i32_e64 s49, v29
	s_cbranch_execz .LBB21_105
.LBB21_124:
	scratch_load_b32 v4, off, off offset:104
	v_add_co_u32 v2, vcc_lo, v0, v37
	v_add_co_ci_u32_e32 v3, vcc_lo, 0, v1, vcc_lo
	s_waitcnt vmcnt(0)
	v_mul_f32_e32 v4, s51, v4
	global_store_b32 v[2:3], v4, off offset:768
	s_or_b32 exec_lo, exec_lo, s0
	s_delay_alu instid0(SALU_CYCLE_1)
	s_mov_b32 s0, exec_lo
	v_cmpx_gt_i32_e64 s49, v28
	s_cbranch_execz .LBB21_106
.LBB21_125:
	scratch_load_b32 v4, off, off offset:108
	v_add_co_u32 v2, vcc_lo, v0, v37
	v_add_co_ci_u32_e32 v3, vcc_lo, 0, v1, vcc_lo
	s_waitcnt vmcnt(0)
	v_mul_f32_e32 v4, s51, v4
	global_store_b32 v[2:3], v4, off offset:896
	s_or_b32 exec_lo, exec_lo, s0
	s_delay_alu instid0(SALU_CYCLE_1)
	s_mov_b32 s0, exec_lo
	v_cmpx_gt_i32_e64 s49, v27
	s_cbranch_execz .LBB21_107
.LBB21_126:
	scratch_load_b32 v4, off, off offset:112
	v_add_co_u32 v2, vcc_lo, v0, v37
	v_add_co_ci_u32_e32 v3, vcc_lo, 0, v1, vcc_lo
	s_waitcnt vmcnt(0)
	v_mul_f32_e32 v4, s51, v4
	global_store_b32 v[2:3], v4, off offset:1024
	s_or_b32 exec_lo, exec_lo, s0
	s_delay_alu instid0(SALU_CYCLE_1)
	s_mov_b32 s0, exec_lo
	v_cmpx_gt_i32_e64 s49, v26
	s_cbranch_execz .LBB21_108
.LBB21_127:
	scratch_load_b32 v4, off, off offset:116
	v_add_co_u32 v2, vcc_lo, v0, v37
	v_add_co_ci_u32_e32 v3, vcc_lo, 0, v1, vcc_lo
	s_waitcnt vmcnt(0)
	v_mul_f32_e32 v4, s51, v4
	global_store_b32 v[2:3], v4, off offset:1152
	s_or_b32 exec_lo, exec_lo, s0
	s_delay_alu instid0(SALU_CYCLE_1)
	s_mov_b32 s0, exec_lo
	v_cmpx_gt_i32_e64 s49, v25
	s_cbranch_execz .LBB21_109
.LBB21_128:
	scratch_load_b32 v4, off, off offset:120
	v_add_co_u32 v2, vcc_lo, v0, v37
	v_add_co_ci_u32_e32 v3, vcc_lo, 0, v1, vcc_lo
	s_waitcnt vmcnt(0)
	v_mul_f32_e32 v4, s51, v4
	global_store_b32 v[2:3], v4, off offset:1280
	s_or_b32 exec_lo, exec_lo, s0
	s_delay_alu instid0(SALU_CYCLE_1)
	s_mov_b32 s0, exec_lo
	v_cmpx_gt_i32_e64 s49, v24
	s_cbranch_execz .LBB21_110
.LBB21_129:
	scratch_load_b32 v4, off, off offset:124
	v_add_co_u32 v2, vcc_lo, v0, v37
	v_add_co_ci_u32_e32 v3, vcc_lo, 0, v1, vcc_lo
	s_waitcnt vmcnt(0)
	v_mul_f32_e32 v4, s51, v4
	global_store_b32 v[2:3], v4, off offset:1408
	s_or_b32 exec_lo, exec_lo, s0
	s_delay_alu instid0(SALU_CYCLE_1)
	s_mov_b32 s0, exec_lo
	v_cmpx_gt_i32_e64 s49, v23
	s_cbranch_execz .LBB21_111
.LBB21_130:
	scratch_load_b32 v4, off, off offset:128
	v_add_co_u32 v2, vcc_lo, v0, v37
	v_add_co_ci_u32_e32 v3, vcc_lo, 0, v1, vcc_lo
	s_waitcnt vmcnt(0)
	v_mul_f32_e32 v4, s51, v4
	global_store_b32 v[2:3], v4, off offset:1536
	s_or_b32 exec_lo, exec_lo, s0
	s_delay_alu instid0(SALU_CYCLE_1)
	s_mov_b32 s0, exec_lo
	v_cmpx_gt_i32_e64 s49, v22
	s_cbranch_execz .LBB21_112
.LBB21_131:
	scratch_load_b32 v4, off, off offset:132
	v_add_co_u32 v2, vcc_lo, v0, v37
	v_add_co_ci_u32_e32 v3, vcc_lo, 0, v1, vcc_lo
	s_waitcnt vmcnt(0)
	v_mul_f32_e32 v4, s51, v4
	global_store_b32 v[2:3], v4, off offset:1664
	s_or_b32 exec_lo, exec_lo, s0
	s_delay_alu instid0(SALU_CYCLE_1)
	s_mov_b32 s0, exec_lo
	v_cmpx_gt_i32_e64 s49, v21
	s_cbranch_execz .LBB21_113
.LBB21_132:
	scratch_load_b32 v4, off, off offset:136
	v_add_co_u32 v2, vcc_lo, v0, v37
	v_add_co_ci_u32_e32 v3, vcc_lo, 0, v1, vcc_lo
	s_waitcnt vmcnt(0)
	v_mul_f32_e32 v4, s51, v4
	global_store_b32 v[2:3], v4, off offset:1792
	s_or_b32 exec_lo, exec_lo, s0
	s_delay_alu instid0(SALU_CYCLE_1)
	s_mov_b32 s0, exec_lo
	v_cmpx_gt_i32_e64 s49, v20
	s_cbranch_execz .LBB21_114
.LBB21_133:
	scratch_load_b32 v4, off, off offset:140
	v_add_co_u32 v2, vcc_lo, v0, v37
	v_add_co_ci_u32_e32 v3, vcc_lo, 0, v1, vcc_lo
	s_waitcnt vmcnt(0)
	v_mul_f32_e32 v4, s51, v4
	global_store_b32 v[2:3], v4, off offset:1920
	s_or_b32 exec_lo, exec_lo, s0
	s_delay_alu instid0(SALU_CYCLE_1)
	s_mov_b32 s0, exec_lo
	v_cmpx_gt_i32_e64 s49, v19
	s_cbranch_execz .LBB21_115
.LBB21_134:
	scratch_load_b32 v4, off, off offset:144
	v_add_co_u32 v2, vcc_lo, v0, v37
	v_add_co_ci_u32_e32 v3, vcc_lo, 0, v1, vcc_lo
	s_waitcnt vmcnt(0)
	v_mul_f32_e32 v4, s51, v4
	global_store_b32 v[2:3], v4, off offset:2048
	s_or_b32 exec_lo, exec_lo, s0
	v_cmp_gt_i32_e32 vcc_lo, s49, v18
	s_and_b32 exec_lo, exec_lo, vcc_lo
	s_cbranch_execnz .LBB21_116
	s_branch .LBB21_117
.LBB21_135:
	s_delay_alu instid0(VALU_DEP_1)
	v_mul_f32_e32 v0, v33, v34
	scratch_store_b32 off, v0, off offset:80
	s_or_b32 exec_lo, exec_lo, s18
	s_and_saveexec_b32 s17, s16
	s_cbranch_execz .LBB21_80
.LBB21_136:
	v_mul_f32_e32 v0, v1, v34
	scratch_store_b32 off, v0, off offset:84
	s_or_b32 exec_lo, exec_lo, s17
	s_and_saveexec_b32 s16, s15
	s_cbranch_execz .LBB21_81
.LBB21_137:
	v_mul_f32_e32 v0, v2, v34
	scratch_store_b32 off, v0, off offset:88
	s_or_b32 exec_lo, exec_lo, s16
	s_and_saveexec_b32 s15, s14
	s_cbranch_execz .LBB21_82
.LBB21_138:
	v_mul_f32_e32 v0, v3, v34
	scratch_store_b32 off, v0, off offset:92
	s_or_b32 exec_lo, exec_lo, s15
	s_and_saveexec_b32 s14, s13
	s_cbranch_execz .LBB21_83
.LBB21_139:
	v_mul_f32_e32 v0, v12, v34
	scratch_store_b32 off, v0, off offset:96
	s_or_b32 exec_lo, exec_lo, s14
	s_and_saveexec_b32 s13, s12
	s_cbranch_execz .LBB21_84
.LBB21_140:
	v_mul_f32_e32 v0, v13, v34
	scratch_store_b32 off, v0, off offset:100
	s_or_b32 exec_lo, exec_lo, s13
	s_and_saveexec_b32 s12, s11
	s_cbranch_execz .LBB21_85
.LBB21_141:
	v_mul_f32_e32 v0, v14, v34
	scratch_store_b32 off, v0, off offset:104
	s_or_b32 exec_lo, exec_lo, s12
	s_and_saveexec_b32 s11, s10
	s_cbranch_execz .LBB21_86
.LBB21_142:
	v_mul_f32_e32 v0, v15, v34
	scratch_store_b32 off, v0, off offset:108
	s_or_b32 exec_lo, exec_lo, s11
	s_and_saveexec_b32 s10, s9
	s_cbranch_execz .LBB21_87
.LBB21_143:
	v_mul_f32_e32 v0, v8, v34
	scratch_store_b32 off, v0, off offset:112
	s_or_b32 exec_lo, exec_lo, s10
	s_and_saveexec_b32 s9, s8
	s_cbranch_execz .LBB21_88
.LBB21_144:
	v_mul_f32_e32 v0, v9, v34
	scratch_store_b32 off, v0, off offset:116
	s_or_b32 exec_lo, exec_lo, s9
	s_and_saveexec_b32 s8, s7
	s_cbranch_execz .LBB21_89
.LBB21_145:
	v_mul_f32_e32 v0, v10, v34
	scratch_store_b32 off, v0, off offset:120
	s_or_b32 exec_lo, exec_lo, s8
	s_and_saveexec_b32 s7, s6
	s_cbranch_execz .LBB21_90
.LBB21_146:
	v_mul_f32_e32 v0, v11, v34
	scratch_store_b32 off, v0, off offset:124
	s_or_b32 exec_lo, exec_lo, s7
	s_and_saveexec_b32 s6, s5
	s_cbranch_execz .LBB21_91
.LBB21_147:
	v_mul_f32_e32 v0, v4, v34
	scratch_store_b32 off, v0, off offset:128
	s_or_b32 exec_lo, exec_lo, s6
	s_and_saveexec_b32 s5, s4
	s_cbranch_execz .LBB21_92
.LBB21_148:
	v_mul_f32_e32 v0, v5, v34
	scratch_store_b32 off, v0, off offset:132
	s_or_b32 exec_lo, exec_lo, s5
	s_and_saveexec_b32 s4, s3
	s_cbranch_execz .LBB21_93
.LBB21_149:
	v_mul_f32_e32 v0, v6, v34
	scratch_store_b32 off, v0, off offset:136
	s_or_b32 exec_lo, exec_lo, s4
	s_and_saveexec_b32 s3, s2
	s_cbranch_execz .LBB21_94
.LBB21_150:
	v_mul_f32_e32 v0, v7, v34
	scratch_store_b32 off, v0, off offset:140
	s_or_b32 exec_lo, exec_lo, s3
	s_and_saveexec_b32 s2, s1
	s_cbranch_execz .LBB21_95
.LBB21_151:
	v_mul_f32_e32 v0, v16, v34
	scratch_store_b32 off, v0, off offset:144
	s_or_b32 exec_lo, exec_lo, s2
	s_and_saveexec_b32 s1, s0
	s_cbranch_execnz .LBB21_96
	s_branch .LBB21_97
	.section	.rodata,"a",@progbits
	.p2align	6, 0x0
	.amdhsa_kernel _Z13topk_moe_cudaILi576ELb0EEvPKfPfPiS2_iiff15topk_moe_config
		.amdhsa_group_segment_fixed_size 0
		.amdhsa_private_segment_fixed_size 160
		.amdhsa_kernarg_size 312
		.amdhsa_user_sgpr_count 15
		.amdhsa_user_sgpr_dispatch_ptr 0
		.amdhsa_user_sgpr_queue_ptr 0
		.amdhsa_user_sgpr_kernarg_segment_ptr 1
		.amdhsa_user_sgpr_dispatch_id 0
		.amdhsa_user_sgpr_private_segment_size 0
		.amdhsa_wavefront_size32 1
		.amdhsa_uses_dynamic_stack 0
		.amdhsa_enable_private_segment 1
		.amdhsa_system_sgpr_workgroup_id_x 1
		.amdhsa_system_sgpr_workgroup_id_y 0
		.amdhsa_system_sgpr_workgroup_id_z 0
		.amdhsa_system_sgpr_workgroup_info 0
		.amdhsa_system_vgpr_workitem_id 1
		.amdhsa_next_free_vgpr 98
		.amdhsa_next_free_sgpr 56
		.amdhsa_reserve_vcc 1
		.amdhsa_float_round_mode_32 0
		.amdhsa_float_round_mode_16_64 0
		.amdhsa_float_denorm_mode_32 3
		.amdhsa_float_denorm_mode_16_64 3
		.amdhsa_dx10_clamp 1
		.amdhsa_ieee_mode 1
		.amdhsa_fp16_overflow 0
		.amdhsa_workgroup_processor_mode 1
		.amdhsa_memory_ordered 1
		.amdhsa_forward_progress 0
		.amdhsa_shared_vgpr_count 0
		.amdhsa_exception_fp_ieee_invalid_op 0
		.amdhsa_exception_fp_denorm_src 0
		.amdhsa_exception_fp_ieee_div_zero 0
		.amdhsa_exception_fp_ieee_overflow 0
		.amdhsa_exception_fp_ieee_underflow 0
		.amdhsa_exception_fp_ieee_inexact 0
		.amdhsa_exception_int_div_zero 0
	.end_amdhsa_kernel
	.section	.text._Z13topk_moe_cudaILi576ELb0EEvPKfPfPiS2_iiff15topk_moe_config,"axG",@progbits,_Z13topk_moe_cudaILi576ELb0EEvPKfPfPiS2_iiff15topk_moe_config,comdat
.Lfunc_end21:
	.size	_Z13topk_moe_cudaILi576ELb0EEvPKfPfPiS2_iiff15topk_moe_config, .Lfunc_end21-_Z13topk_moe_cudaILi576ELb0EEvPKfPfPiS2_iiff15topk_moe_config
                                        ; -- End function
	.section	.AMDGPU.csdata,"",@progbits
; Kernel info:
; codeLenInByte = 14656
; NumSgprs: 58
; NumVgprs: 98
; ScratchSize: 160
; MemoryBound: 0
; FloatMode: 240
; IeeeMode: 1
; LDSByteSize: 0 bytes/workgroup (compile time only)
; SGPRBlocks: 7
; VGPRBlocks: 12
; NumSGPRsForWavesPerEU: 58
; NumVGPRsForWavesPerEU: 98
; Occupancy: 12
; WaveLimiterHint : 1
; COMPUTE_PGM_RSRC2:SCRATCH_EN: 1
; COMPUTE_PGM_RSRC2:USER_SGPR: 15
; COMPUTE_PGM_RSRC2:TRAP_HANDLER: 0
; COMPUTE_PGM_RSRC2:TGID_X_EN: 1
; COMPUTE_PGM_RSRC2:TGID_Y_EN: 0
; COMPUTE_PGM_RSRC2:TGID_Z_EN: 0
; COMPUTE_PGM_RSRC2:TIDIG_COMP_CNT: 1
	.text
	.p2alignl 7, 3214868480
	.fill 96, 4, 3214868480
	.type	__hip_cuid_f3fa723e71f8fe7e,@object ; @__hip_cuid_f3fa723e71f8fe7e
	.section	.bss,"aw",@nobits
	.globl	__hip_cuid_f3fa723e71f8fe7e
__hip_cuid_f3fa723e71f8fe7e:
	.byte	0                               ; 0x0
	.size	__hip_cuid_f3fa723e71f8fe7e, 1

	.ident	"AMD clang version 19.0.0git (https://github.com/RadeonOpenCompute/llvm-project roc-6.4.0 25133 c7fe45cf4b819c5991fe208aaa96edf142730f1d)"
	.section	".note.GNU-stack","",@progbits
	.addrsig
	.addrsig_sym __hip_cuid_f3fa723e71f8fe7e
	.amdgpu_metadata
---
amdhsa.kernels:
  - .args:
      - .address_space:  global
        .offset:         0
        .size:           8
        .value_kind:     global_buffer
      - .address_space:  global
        .offset:         8
        .size:           8
        .value_kind:     global_buffer
      - .address_space:  global
        .offset:         16
        .size:           8
        .value_kind:     global_buffer
      - .address_space:  global
        .offset:         24
        .size:           8
        .value_kind:     global_buffer
      - .offset:         32
        .size:           4
        .value_kind:     by_value
      - .offset:         36
        .size:           4
        .value_kind:     by_value
      - .offset:         40
        .size:           4
        .value_kind:     by_value
      - .offset:         44
        .size:           4
        .value_kind:     by_value
      - .offset:         48
        .size:           3
        .value_kind:     by_value
      - .offset:         56
        .size:           4
        .value_kind:     hidden_block_count_x
      - .offset:         60
        .size:           4
        .value_kind:     hidden_block_count_y
      - .offset:         64
        .size:           4
        .value_kind:     hidden_block_count_z
      - .offset:         68
        .size:           2
        .value_kind:     hidden_group_size_x
      - .offset:         70
        .size:           2
        .value_kind:     hidden_group_size_y
      - .offset:         72
        .size:           2
        .value_kind:     hidden_group_size_z
      - .offset:         74
        .size:           2
        .value_kind:     hidden_remainder_x
      - .offset:         76
        .size:           2
        .value_kind:     hidden_remainder_y
      - .offset:         78
        .size:           2
        .value_kind:     hidden_remainder_z
      - .offset:         96
        .size:           8
        .value_kind:     hidden_global_offset_x
      - .offset:         104
        .size:           8
        .value_kind:     hidden_global_offset_y
      - .offset:         112
        .size:           8
        .value_kind:     hidden_global_offset_z
      - .offset:         120
        .size:           2
        .value_kind:     hidden_grid_dims
    .group_segment_fixed_size: 0
    .kernarg_segment_align: 8
    .kernarg_segment_size: 312
    .language:       OpenCL C
    .language_version:
      - 2
      - 0
    .max_flat_workgroup_size: 128
    .name:           _Z13topk_moe_cudaILi1ELb1EEvPKfPfPiS2_iiff15topk_moe_config
    .private_segment_fixed_size: 0
    .sgpr_count:     22
    .sgpr_spill_count: 0
    .symbol:         _Z13topk_moe_cudaILi1ELb1EEvPKfPfPiS2_iiff15topk_moe_config.kd
    .uniform_work_group_size: 1
    .uses_dynamic_stack: false
    .vgpr_count:     22
    .vgpr_spill_count: 0
    .wavefront_size: 32
    .workgroup_processor_mode: 1
  - .args:
      - .address_space:  global
        .offset:         0
        .size:           8
        .value_kind:     global_buffer
      - .address_space:  global
        .offset:         8
        .size:           8
        .value_kind:     global_buffer
      - .address_space:  global
        .offset:         16
        .size:           8
        .value_kind:     global_buffer
      - .address_space:  global
        .offset:         24
        .size:           8
        .value_kind:     global_buffer
      - .offset:         32
        .size:           4
        .value_kind:     by_value
      - .offset:         36
        .size:           4
        .value_kind:     by_value
      - .offset:         40
        .size:           4
        .value_kind:     by_value
      - .offset:         44
        .size:           4
        .value_kind:     by_value
      - .offset:         48
        .size:           3
        .value_kind:     by_value
      - .offset:         56
        .size:           4
        .value_kind:     hidden_block_count_x
      - .offset:         60
        .size:           4
        .value_kind:     hidden_block_count_y
      - .offset:         64
        .size:           4
        .value_kind:     hidden_block_count_z
      - .offset:         68
        .size:           2
        .value_kind:     hidden_group_size_x
      - .offset:         70
        .size:           2
        .value_kind:     hidden_group_size_y
      - .offset:         72
        .size:           2
        .value_kind:     hidden_group_size_z
      - .offset:         74
        .size:           2
        .value_kind:     hidden_remainder_x
      - .offset:         76
        .size:           2
        .value_kind:     hidden_remainder_y
      - .offset:         78
        .size:           2
        .value_kind:     hidden_remainder_z
      - .offset:         96
        .size:           8
        .value_kind:     hidden_global_offset_x
      - .offset:         104
        .size:           8
        .value_kind:     hidden_global_offset_y
      - .offset:         112
        .size:           8
        .value_kind:     hidden_global_offset_z
      - .offset:         120
        .size:           2
        .value_kind:     hidden_grid_dims
    .group_segment_fixed_size: 0
    .kernarg_segment_align: 8
    .kernarg_segment_size: 312
    .language:       OpenCL C
    .language_version:
      - 2
      - 0
    .max_flat_workgroup_size: 128
    .name:           _Z13topk_moe_cudaILi2ELb1EEvPKfPfPiS2_iiff15topk_moe_config
    .private_segment_fixed_size: 0
    .sgpr_count:     22
    .sgpr_spill_count: 0
    .symbol:         _Z13topk_moe_cudaILi2ELb1EEvPKfPfPiS2_iiff15topk_moe_config.kd
    .uniform_work_group_size: 1
    .uses_dynamic_stack: false
    .vgpr_count:     23
    .vgpr_spill_count: 0
    .wavefront_size: 32
    .workgroup_processor_mode: 1
  - .args:
      - .address_space:  global
        .offset:         0
        .size:           8
        .value_kind:     global_buffer
      - .address_space:  global
        .offset:         8
        .size:           8
        .value_kind:     global_buffer
      - .address_space:  global
        .offset:         16
        .size:           8
        .value_kind:     global_buffer
      - .address_space:  global
        .offset:         24
        .size:           8
        .value_kind:     global_buffer
      - .offset:         32
        .size:           4
        .value_kind:     by_value
      - .offset:         36
        .size:           4
        .value_kind:     by_value
      - .offset:         40
        .size:           4
        .value_kind:     by_value
      - .offset:         44
        .size:           4
        .value_kind:     by_value
      - .offset:         48
        .size:           3
        .value_kind:     by_value
      - .offset:         56
        .size:           4
        .value_kind:     hidden_block_count_x
      - .offset:         60
        .size:           4
        .value_kind:     hidden_block_count_y
      - .offset:         64
        .size:           4
        .value_kind:     hidden_block_count_z
      - .offset:         68
        .size:           2
        .value_kind:     hidden_group_size_x
      - .offset:         70
        .size:           2
        .value_kind:     hidden_group_size_y
      - .offset:         72
        .size:           2
        .value_kind:     hidden_group_size_z
      - .offset:         74
        .size:           2
        .value_kind:     hidden_remainder_x
      - .offset:         76
        .size:           2
        .value_kind:     hidden_remainder_y
      - .offset:         78
        .size:           2
        .value_kind:     hidden_remainder_z
      - .offset:         96
        .size:           8
        .value_kind:     hidden_global_offset_x
      - .offset:         104
        .size:           8
        .value_kind:     hidden_global_offset_y
      - .offset:         112
        .size:           8
        .value_kind:     hidden_global_offset_z
      - .offset:         120
        .size:           2
        .value_kind:     hidden_grid_dims
    .group_segment_fixed_size: 0
    .kernarg_segment_align: 8
    .kernarg_segment_size: 312
    .language:       OpenCL C
    .language_version:
      - 2
      - 0
    .max_flat_workgroup_size: 128
    .name:           _Z13topk_moe_cudaILi4ELb1EEvPKfPfPiS2_iiff15topk_moe_config
    .private_segment_fixed_size: 0
    .sgpr_count:     22
    .sgpr_spill_count: 0
    .symbol:         _Z13topk_moe_cudaILi4ELb1EEvPKfPfPiS2_iiff15topk_moe_config.kd
    .uniform_work_group_size: 1
    .uses_dynamic_stack: false
    .vgpr_count:     23
    .vgpr_spill_count: 0
    .wavefront_size: 32
    .workgroup_processor_mode: 1
  - .args:
      - .address_space:  global
        .offset:         0
        .size:           8
        .value_kind:     global_buffer
      - .address_space:  global
        .offset:         8
        .size:           8
        .value_kind:     global_buffer
      - .address_space:  global
        .offset:         16
        .size:           8
        .value_kind:     global_buffer
      - .address_space:  global
        .offset:         24
        .size:           8
        .value_kind:     global_buffer
      - .offset:         32
        .size:           4
        .value_kind:     by_value
      - .offset:         36
        .size:           4
        .value_kind:     by_value
      - .offset:         40
        .size:           4
        .value_kind:     by_value
      - .offset:         44
        .size:           4
        .value_kind:     by_value
      - .offset:         48
        .size:           3
        .value_kind:     by_value
      - .offset:         56
        .size:           4
        .value_kind:     hidden_block_count_x
      - .offset:         60
        .size:           4
        .value_kind:     hidden_block_count_y
      - .offset:         64
        .size:           4
        .value_kind:     hidden_block_count_z
      - .offset:         68
        .size:           2
        .value_kind:     hidden_group_size_x
      - .offset:         70
        .size:           2
        .value_kind:     hidden_group_size_y
      - .offset:         72
        .size:           2
        .value_kind:     hidden_group_size_z
      - .offset:         74
        .size:           2
        .value_kind:     hidden_remainder_x
      - .offset:         76
        .size:           2
        .value_kind:     hidden_remainder_y
      - .offset:         78
        .size:           2
        .value_kind:     hidden_remainder_z
      - .offset:         96
        .size:           8
        .value_kind:     hidden_global_offset_x
      - .offset:         104
        .size:           8
        .value_kind:     hidden_global_offset_y
      - .offset:         112
        .size:           8
        .value_kind:     hidden_global_offset_z
      - .offset:         120
        .size:           2
        .value_kind:     hidden_grid_dims
    .group_segment_fixed_size: 0
    .kernarg_segment_align: 8
    .kernarg_segment_size: 312
    .language:       OpenCL C
    .language_version:
      - 2
      - 0
    .max_flat_workgroup_size: 128
    .name:           _Z13topk_moe_cudaILi8ELb1EEvPKfPfPiS2_iiff15topk_moe_config
    .private_segment_fixed_size: 0
    .sgpr_count:     22
    .sgpr_spill_count: 0
    .symbol:         _Z13topk_moe_cudaILi8ELb1EEvPKfPfPiS2_iiff15topk_moe_config.kd
    .uniform_work_group_size: 1
    .uses_dynamic_stack: false
    .vgpr_count:     23
    .vgpr_spill_count: 0
    .wavefront_size: 32
    .workgroup_processor_mode: 1
  - .args:
      - .address_space:  global
        .offset:         0
        .size:           8
        .value_kind:     global_buffer
      - .address_space:  global
        .offset:         8
        .size:           8
        .value_kind:     global_buffer
      - .address_space:  global
        .offset:         16
        .size:           8
        .value_kind:     global_buffer
      - .address_space:  global
        .offset:         24
        .size:           8
        .value_kind:     global_buffer
      - .offset:         32
        .size:           4
        .value_kind:     by_value
      - .offset:         36
        .size:           4
        .value_kind:     by_value
      - .offset:         40
        .size:           4
        .value_kind:     by_value
      - .offset:         44
        .size:           4
        .value_kind:     by_value
      - .offset:         48
        .size:           3
        .value_kind:     by_value
      - .offset:         56
        .size:           4
        .value_kind:     hidden_block_count_x
      - .offset:         60
        .size:           4
        .value_kind:     hidden_block_count_y
      - .offset:         64
        .size:           4
        .value_kind:     hidden_block_count_z
      - .offset:         68
        .size:           2
        .value_kind:     hidden_group_size_x
      - .offset:         70
        .size:           2
        .value_kind:     hidden_group_size_y
      - .offset:         72
        .size:           2
        .value_kind:     hidden_group_size_z
      - .offset:         74
        .size:           2
        .value_kind:     hidden_remainder_x
      - .offset:         76
        .size:           2
        .value_kind:     hidden_remainder_y
      - .offset:         78
        .size:           2
        .value_kind:     hidden_remainder_z
      - .offset:         96
        .size:           8
        .value_kind:     hidden_global_offset_x
      - .offset:         104
        .size:           8
        .value_kind:     hidden_global_offset_y
      - .offset:         112
        .size:           8
        .value_kind:     hidden_global_offset_z
      - .offset:         120
        .size:           2
        .value_kind:     hidden_grid_dims
    .group_segment_fixed_size: 0
    .kernarg_segment_align: 8
    .kernarg_segment_size: 312
    .language:       OpenCL C
    .language_version:
      - 2
      - 0
    .max_flat_workgroup_size: 128
    .name:           _Z13topk_moe_cudaILi16ELb1EEvPKfPfPiS2_iiff15topk_moe_config
    .private_segment_fixed_size: 0
    .sgpr_count:     22
    .sgpr_spill_count: 0
    .symbol:         _Z13topk_moe_cudaILi16ELb1EEvPKfPfPiS2_iiff15topk_moe_config.kd
    .uniform_work_group_size: 1
    .uses_dynamic_stack: false
    .vgpr_count:     23
    .vgpr_spill_count: 0
    .wavefront_size: 32
    .workgroup_processor_mode: 1
  - .args:
      - .address_space:  global
        .offset:         0
        .size:           8
        .value_kind:     global_buffer
      - .address_space:  global
        .offset:         8
        .size:           8
        .value_kind:     global_buffer
      - .address_space:  global
        .offset:         16
        .size:           8
        .value_kind:     global_buffer
      - .address_space:  global
        .offset:         24
        .size:           8
        .value_kind:     global_buffer
      - .offset:         32
        .size:           4
        .value_kind:     by_value
      - .offset:         36
        .size:           4
        .value_kind:     by_value
      - .offset:         40
        .size:           4
        .value_kind:     by_value
      - .offset:         44
        .size:           4
        .value_kind:     by_value
      - .offset:         48
        .size:           3
        .value_kind:     by_value
      - .offset:         56
        .size:           4
        .value_kind:     hidden_block_count_x
      - .offset:         60
        .size:           4
        .value_kind:     hidden_block_count_y
      - .offset:         64
        .size:           4
        .value_kind:     hidden_block_count_z
      - .offset:         68
        .size:           2
        .value_kind:     hidden_group_size_x
      - .offset:         70
        .size:           2
        .value_kind:     hidden_group_size_y
      - .offset:         72
        .size:           2
        .value_kind:     hidden_group_size_z
      - .offset:         74
        .size:           2
        .value_kind:     hidden_remainder_x
      - .offset:         76
        .size:           2
        .value_kind:     hidden_remainder_y
      - .offset:         78
        .size:           2
        .value_kind:     hidden_remainder_z
      - .offset:         96
        .size:           8
        .value_kind:     hidden_global_offset_x
      - .offset:         104
        .size:           8
        .value_kind:     hidden_global_offset_y
      - .offset:         112
        .size:           8
        .value_kind:     hidden_global_offset_z
      - .offset:         120
        .size:           2
        .value_kind:     hidden_grid_dims
    .group_segment_fixed_size: 0
    .kernarg_segment_align: 8
    .kernarg_segment_size: 312
    .language:       OpenCL C
    .language_version:
      - 2
      - 0
    .max_flat_workgroup_size: 128
    .name:           _Z13topk_moe_cudaILi32ELb1EEvPKfPfPiS2_iiff15topk_moe_config
    .private_segment_fixed_size: 0
    .sgpr_count:     22
    .sgpr_spill_count: 0
    .symbol:         _Z13topk_moe_cudaILi32ELb1EEvPKfPfPiS2_iiff15topk_moe_config.kd
    .uniform_work_group_size: 1
    .uses_dynamic_stack: false
    .vgpr_count:     23
    .vgpr_spill_count: 0
    .wavefront_size: 32
    .workgroup_processor_mode: 1
  - .args:
      - .address_space:  global
        .offset:         0
        .size:           8
        .value_kind:     global_buffer
      - .address_space:  global
        .offset:         8
        .size:           8
        .value_kind:     global_buffer
      - .address_space:  global
        .offset:         16
        .size:           8
        .value_kind:     global_buffer
      - .address_space:  global
        .offset:         24
        .size:           8
        .value_kind:     global_buffer
      - .offset:         32
        .size:           4
        .value_kind:     by_value
      - .offset:         36
        .size:           4
        .value_kind:     by_value
      - .offset:         40
        .size:           4
        .value_kind:     by_value
      - .offset:         44
        .size:           4
        .value_kind:     by_value
      - .offset:         48
        .size:           3
        .value_kind:     by_value
      - .offset:         56
        .size:           4
        .value_kind:     hidden_block_count_x
      - .offset:         60
        .size:           4
        .value_kind:     hidden_block_count_y
      - .offset:         64
        .size:           4
        .value_kind:     hidden_block_count_z
      - .offset:         68
        .size:           2
        .value_kind:     hidden_group_size_x
      - .offset:         70
        .size:           2
        .value_kind:     hidden_group_size_y
      - .offset:         72
        .size:           2
        .value_kind:     hidden_group_size_z
      - .offset:         74
        .size:           2
        .value_kind:     hidden_remainder_x
      - .offset:         76
        .size:           2
        .value_kind:     hidden_remainder_y
      - .offset:         78
        .size:           2
        .value_kind:     hidden_remainder_z
      - .offset:         96
        .size:           8
        .value_kind:     hidden_global_offset_x
      - .offset:         104
        .size:           8
        .value_kind:     hidden_global_offset_y
      - .offset:         112
        .size:           8
        .value_kind:     hidden_global_offset_z
      - .offset:         120
        .size:           2
        .value_kind:     hidden_grid_dims
    .group_segment_fixed_size: 0
    .kernarg_segment_align: 8
    .kernarg_segment_size: 312
    .language:       OpenCL C
    .language_version:
      - 2
      - 0
    .max_flat_workgroup_size: 128
    .name:           _Z13topk_moe_cudaILi64ELb1EEvPKfPfPiS2_iiff15topk_moe_config
    .private_segment_fixed_size: 0
    .sgpr_count:     22
    .sgpr_spill_count: 0
    .symbol:         _Z13topk_moe_cudaILi64ELb1EEvPKfPfPiS2_iiff15topk_moe_config.kd
    .uniform_work_group_size: 1
    .uses_dynamic_stack: false
    .vgpr_count:     25
    .vgpr_spill_count: 0
    .wavefront_size: 32
    .workgroup_processor_mode: 1
  - .args:
      - .address_space:  global
        .offset:         0
        .size:           8
        .value_kind:     global_buffer
      - .address_space:  global
        .offset:         8
        .size:           8
        .value_kind:     global_buffer
      - .address_space:  global
        .offset:         16
        .size:           8
        .value_kind:     global_buffer
      - .address_space:  global
        .offset:         24
        .size:           8
        .value_kind:     global_buffer
      - .offset:         32
        .size:           4
        .value_kind:     by_value
      - .offset:         36
        .size:           4
        .value_kind:     by_value
      - .offset:         40
        .size:           4
        .value_kind:     by_value
      - .offset:         44
        .size:           4
        .value_kind:     by_value
      - .offset:         48
        .size:           3
        .value_kind:     by_value
      - .offset:         56
        .size:           4
        .value_kind:     hidden_block_count_x
      - .offset:         60
        .size:           4
        .value_kind:     hidden_block_count_y
      - .offset:         64
        .size:           4
        .value_kind:     hidden_block_count_z
      - .offset:         68
        .size:           2
        .value_kind:     hidden_group_size_x
      - .offset:         70
        .size:           2
        .value_kind:     hidden_group_size_y
      - .offset:         72
        .size:           2
        .value_kind:     hidden_group_size_z
      - .offset:         74
        .size:           2
        .value_kind:     hidden_remainder_x
      - .offset:         76
        .size:           2
        .value_kind:     hidden_remainder_y
      - .offset:         78
        .size:           2
        .value_kind:     hidden_remainder_z
      - .offset:         96
        .size:           8
        .value_kind:     hidden_global_offset_x
      - .offset:         104
        .size:           8
        .value_kind:     hidden_global_offset_y
      - .offset:         112
        .size:           8
        .value_kind:     hidden_global_offset_z
      - .offset:         120
        .size:           2
        .value_kind:     hidden_grid_dims
    .group_segment_fixed_size: 0
    .kernarg_segment_align: 8
    .kernarg_segment_size: 312
    .language:       OpenCL C
    .language_version:
      - 2
      - 0
    .max_flat_workgroup_size: 128
    .name:           _Z13topk_moe_cudaILi128ELb1EEvPKfPfPiS2_iiff15topk_moe_config
    .private_segment_fixed_size: 0
    .sgpr_count:     22
    .sgpr_spill_count: 0
    .symbol:         _Z13topk_moe_cudaILi128ELb1EEvPKfPfPiS2_iiff15topk_moe_config.kd
    .uniform_work_group_size: 1
    .uses_dynamic_stack: false
    .vgpr_count:     33
    .vgpr_spill_count: 0
    .wavefront_size: 32
    .workgroup_processor_mode: 1
  - .args:
      - .address_space:  global
        .offset:         0
        .size:           8
        .value_kind:     global_buffer
      - .address_space:  global
        .offset:         8
        .size:           8
        .value_kind:     global_buffer
      - .address_space:  global
        .offset:         16
        .size:           8
        .value_kind:     global_buffer
      - .address_space:  global
        .offset:         24
        .size:           8
        .value_kind:     global_buffer
      - .offset:         32
        .size:           4
        .value_kind:     by_value
      - .offset:         36
        .size:           4
        .value_kind:     by_value
      - .offset:         40
        .size:           4
        .value_kind:     by_value
      - .offset:         44
        .size:           4
        .value_kind:     by_value
      - .offset:         48
        .size:           3
        .value_kind:     by_value
      - .offset:         56
        .size:           4
        .value_kind:     hidden_block_count_x
      - .offset:         60
        .size:           4
        .value_kind:     hidden_block_count_y
      - .offset:         64
        .size:           4
        .value_kind:     hidden_block_count_z
      - .offset:         68
        .size:           2
        .value_kind:     hidden_group_size_x
      - .offset:         70
        .size:           2
        .value_kind:     hidden_group_size_y
      - .offset:         72
        .size:           2
        .value_kind:     hidden_group_size_z
      - .offset:         74
        .size:           2
        .value_kind:     hidden_remainder_x
      - .offset:         76
        .size:           2
        .value_kind:     hidden_remainder_y
      - .offset:         78
        .size:           2
        .value_kind:     hidden_remainder_z
      - .offset:         96
        .size:           8
        .value_kind:     hidden_global_offset_x
      - .offset:         104
        .size:           8
        .value_kind:     hidden_global_offset_y
      - .offset:         112
        .size:           8
        .value_kind:     hidden_global_offset_z
      - .offset:         120
        .size:           2
        .value_kind:     hidden_grid_dims
    .group_segment_fixed_size: 0
    .kernarg_segment_align: 8
    .kernarg_segment_size: 312
    .language:       OpenCL C
    .language_version:
      - 2
      - 0
    .max_flat_workgroup_size: 128
    .name:           _Z13topk_moe_cudaILi256ELb1EEvPKfPfPiS2_iiff15topk_moe_config
    .private_segment_fixed_size: 0
    .sgpr_count:     22
    .sgpr_spill_count: 0
    .symbol:         _Z13topk_moe_cudaILi256ELb1EEvPKfPfPiS2_iiff15topk_moe_config.kd
    .uniform_work_group_size: 1
    .uses_dynamic_stack: false
    .vgpr_count:     52
    .vgpr_spill_count: 0
    .wavefront_size: 32
    .workgroup_processor_mode: 1
  - .args:
      - .address_space:  global
        .offset:         0
        .size:           8
        .value_kind:     global_buffer
      - .address_space:  global
        .offset:         8
        .size:           8
        .value_kind:     global_buffer
      - .address_space:  global
        .offset:         16
        .size:           8
        .value_kind:     global_buffer
      - .address_space:  global
        .offset:         24
        .size:           8
        .value_kind:     global_buffer
      - .offset:         32
        .size:           4
        .value_kind:     by_value
      - .offset:         36
        .size:           4
        .value_kind:     by_value
      - .offset:         40
        .size:           4
        .value_kind:     by_value
      - .offset:         44
        .size:           4
        .value_kind:     by_value
      - .offset:         48
        .size:           3
        .value_kind:     by_value
      - .offset:         56
        .size:           4
        .value_kind:     hidden_block_count_x
      - .offset:         60
        .size:           4
        .value_kind:     hidden_block_count_y
      - .offset:         64
        .size:           4
        .value_kind:     hidden_block_count_z
      - .offset:         68
        .size:           2
        .value_kind:     hidden_group_size_x
      - .offset:         70
        .size:           2
        .value_kind:     hidden_group_size_y
      - .offset:         72
        .size:           2
        .value_kind:     hidden_group_size_z
      - .offset:         74
        .size:           2
        .value_kind:     hidden_remainder_x
      - .offset:         76
        .size:           2
        .value_kind:     hidden_remainder_y
      - .offset:         78
        .size:           2
        .value_kind:     hidden_remainder_z
      - .offset:         96
        .size:           8
        .value_kind:     hidden_global_offset_x
      - .offset:         104
        .size:           8
        .value_kind:     hidden_global_offset_y
      - .offset:         112
        .size:           8
        .value_kind:     hidden_global_offset_z
      - .offset:         120
        .size:           2
        .value_kind:     hidden_grid_dims
    .group_segment_fixed_size: 0
    .kernarg_segment_align: 8
    .kernarg_segment_size: 312
    .language:       OpenCL C
    .language_version:
      - 2
      - 0
    .max_flat_workgroup_size: 128
    .name:           _Z13topk_moe_cudaILi512ELb1EEvPKfPfPiS2_iiff15topk_moe_config
    .private_segment_fixed_size: 0
    .sgpr_count:     30
    .sgpr_spill_count: 0
    .symbol:         _Z13topk_moe_cudaILi512ELb1EEvPKfPfPiS2_iiff15topk_moe_config.kd
    .uniform_work_group_size: 1
    .uses_dynamic_stack: false
    .vgpr_count:     92
    .vgpr_spill_count: 0
    .wavefront_size: 32
    .workgroup_processor_mode: 1
  - .args:
      - .address_space:  global
        .offset:         0
        .size:           8
        .value_kind:     global_buffer
      - .address_space:  global
        .offset:         8
        .size:           8
        .value_kind:     global_buffer
      - .address_space:  global
        .offset:         16
        .size:           8
        .value_kind:     global_buffer
      - .address_space:  global
        .offset:         24
        .size:           8
        .value_kind:     global_buffer
      - .offset:         32
        .size:           4
        .value_kind:     by_value
      - .offset:         36
        .size:           4
        .value_kind:     by_value
      - .offset:         40
        .size:           4
        .value_kind:     by_value
      - .offset:         44
        .size:           4
        .value_kind:     by_value
      - .offset:         48
        .size:           3
        .value_kind:     by_value
      - .offset:         56
        .size:           4
        .value_kind:     hidden_block_count_x
      - .offset:         60
        .size:           4
        .value_kind:     hidden_block_count_y
      - .offset:         64
        .size:           4
        .value_kind:     hidden_block_count_z
      - .offset:         68
        .size:           2
        .value_kind:     hidden_group_size_x
      - .offset:         70
        .size:           2
        .value_kind:     hidden_group_size_y
      - .offset:         72
        .size:           2
        .value_kind:     hidden_group_size_z
      - .offset:         74
        .size:           2
        .value_kind:     hidden_remainder_x
      - .offset:         76
        .size:           2
        .value_kind:     hidden_remainder_y
      - .offset:         78
        .size:           2
        .value_kind:     hidden_remainder_z
      - .offset:         96
        .size:           8
        .value_kind:     hidden_global_offset_x
      - .offset:         104
        .size:           8
        .value_kind:     hidden_global_offset_y
      - .offset:         112
        .size:           8
        .value_kind:     hidden_global_offset_z
      - .offset:         120
        .size:           2
        .value_kind:     hidden_grid_dims
    .group_segment_fixed_size: 0
    .kernarg_segment_align: 8
    .kernarg_segment_size: 312
    .language:       OpenCL C
    .language_version:
      - 2
      - 0
    .max_flat_workgroup_size: 128
    .name:           _Z13topk_moe_cudaILi576ELb1EEvPKfPfPiS2_iiff15topk_moe_config
    .private_segment_fixed_size: 160
    .sgpr_count:     62
    .sgpr_spill_count: 0
    .symbol:         _Z13topk_moe_cudaILi576ELb1EEvPKfPfPiS2_iiff15topk_moe_config.kd
    .uniform_work_group_size: 1
    .uses_dynamic_stack: false
    .vgpr_count:     99
    .vgpr_spill_count: 0
    .wavefront_size: 32
    .workgroup_processor_mode: 1
  - .args:
      - .address_space:  global
        .offset:         0
        .size:           8
        .value_kind:     global_buffer
      - .address_space:  global
        .offset:         8
        .size:           8
        .value_kind:     global_buffer
      - .address_space:  global
        .offset:         16
        .size:           8
        .value_kind:     global_buffer
      - .address_space:  global
        .offset:         24
        .size:           8
        .value_kind:     global_buffer
      - .offset:         32
        .size:           4
        .value_kind:     by_value
      - .offset:         36
        .size:           4
        .value_kind:     by_value
      - .offset:         40
        .size:           4
        .value_kind:     by_value
      - .offset:         44
        .size:           4
        .value_kind:     by_value
      - .offset:         48
        .size:           3
        .value_kind:     by_value
      - .offset:         56
        .size:           4
        .value_kind:     hidden_block_count_x
      - .offset:         60
        .size:           4
        .value_kind:     hidden_block_count_y
      - .offset:         64
        .size:           4
        .value_kind:     hidden_block_count_z
      - .offset:         68
        .size:           2
        .value_kind:     hidden_group_size_x
      - .offset:         70
        .size:           2
        .value_kind:     hidden_group_size_y
      - .offset:         72
        .size:           2
        .value_kind:     hidden_group_size_z
      - .offset:         74
        .size:           2
        .value_kind:     hidden_remainder_x
      - .offset:         76
        .size:           2
        .value_kind:     hidden_remainder_y
      - .offset:         78
        .size:           2
        .value_kind:     hidden_remainder_z
      - .offset:         96
        .size:           8
        .value_kind:     hidden_global_offset_x
      - .offset:         104
        .size:           8
        .value_kind:     hidden_global_offset_y
      - .offset:         112
        .size:           8
        .value_kind:     hidden_global_offset_z
      - .offset:         120
        .size:           2
        .value_kind:     hidden_grid_dims
    .group_segment_fixed_size: 0
    .kernarg_segment_align: 8
    .kernarg_segment_size: 312
    .language:       OpenCL C
    .language_version:
      - 2
      - 0
    .max_flat_workgroup_size: 128
    .name:           _Z13topk_moe_cudaILi1ELb0EEvPKfPfPiS2_iiff15topk_moe_config
    .private_segment_fixed_size: 0
    .sgpr_count:     18
    .sgpr_spill_count: 0
    .symbol:         _Z13topk_moe_cudaILi1ELb0EEvPKfPfPiS2_iiff15topk_moe_config.kd
    .uniform_work_group_size: 1
    .uses_dynamic_stack: false
    .vgpr_count:     18
    .vgpr_spill_count: 0
    .wavefront_size: 32
    .workgroup_processor_mode: 1
  - .args:
      - .address_space:  global
        .offset:         0
        .size:           8
        .value_kind:     global_buffer
      - .address_space:  global
        .offset:         8
        .size:           8
        .value_kind:     global_buffer
      - .address_space:  global
        .offset:         16
        .size:           8
        .value_kind:     global_buffer
      - .address_space:  global
        .offset:         24
        .size:           8
        .value_kind:     global_buffer
      - .offset:         32
        .size:           4
        .value_kind:     by_value
      - .offset:         36
        .size:           4
        .value_kind:     by_value
      - .offset:         40
        .size:           4
        .value_kind:     by_value
      - .offset:         44
        .size:           4
        .value_kind:     by_value
      - .offset:         48
        .size:           3
        .value_kind:     by_value
      - .offset:         56
        .size:           4
        .value_kind:     hidden_block_count_x
      - .offset:         60
        .size:           4
        .value_kind:     hidden_block_count_y
      - .offset:         64
        .size:           4
        .value_kind:     hidden_block_count_z
      - .offset:         68
        .size:           2
        .value_kind:     hidden_group_size_x
      - .offset:         70
        .size:           2
        .value_kind:     hidden_group_size_y
      - .offset:         72
        .size:           2
        .value_kind:     hidden_group_size_z
      - .offset:         74
        .size:           2
        .value_kind:     hidden_remainder_x
      - .offset:         76
        .size:           2
        .value_kind:     hidden_remainder_y
      - .offset:         78
        .size:           2
        .value_kind:     hidden_remainder_z
      - .offset:         96
        .size:           8
        .value_kind:     hidden_global_offset_x
      - .offset:         104
        .size:           8
        .value_kind:     hidden_global_offset_y
      - .offset:         112
        .size:           8
        .value_kind:     hidden_global_offset_z
      - .offset:         120
        .size:           2
        .value_kind:     hidden_grid_dims
    .group_segment_fixed_size: 0
    .kernarg_segment_align: 8
    .kernarg_segment_size: 312
    .language:       OpenCL C
    .language_version:
      - 2
      - 0
    .max_flat_workgroup_size: 128
    .name:           _Z13topk_moe_cudaILi2ELb0EEvPKfPfPiS2_iiff15topk_moe_config
    .private_segment_fixed_size: 0
    .sgpr_count:     18
    .sgpr_spill_count: 0
    .symbol:         _Z13topk_moe_cudaILi2ELb0EEvPKfPfPiS2_iiff15topk_moe_config.kd
    .uniform_work_group_size: 1
    .uses_dynamic_stack: false
    .vgpr_count:     19
    .vgpr_spill_count: 0
    .wavefront_size: 32
    .workgroup_processor_mode: 1
  - .args:
      - .address_space:  global
        .offset:         0
        .size:           8
        .value_kind:     global_buffer
      - .address_space:  global
        .offset:         8
        .size:           8
        .value_kind:     global_buffer
      - .address_space:  global
        .offset:         16
        .size:           8
        .value_kind:     global_buffer
      - .address_space:  global
        .offset:         24
        .size:           8
        .value_kind:     global_buffer
      - .offset:         32
        .size:           4
        .value_kind:     by_value
      - .offset:         36
        .size:           4
        .value_kind:     by_value
      - .offset:         40
        .size:           4
        .value_kind:     by_value
      - .offset:         44
        .size:           4
        .value_kind:     by_value
      - .offset:         48
        .size:           3
        .value_kind:     by_value
      - .offset:         56
        .size:           4
        .value_kind:     hidden_block_count_x
      - .offset:         60
        .size:           4
        .value_kind:     hidden_block_count_y
      - .offset:         64
        .size:           4
        .value_kind:     hidden_block_count_z
      - .offset:         68
        .size:           2
        .value_kind:     hidden_group_size_x
      - .offset:         70
        .size:           2
        .value_kind:     hidden_group_size_y
      - .offset:         72
        .size:           2
        .value_kind:     hidden_group_size_z
      - .offset:         74
        .size:           2
        .value_kind:     hidden_remainder_x
      - .offset:         76
        .size:           2
        .value_kind:     hidden_remainder_y
      - .offset:         78
        .size:           2
        .value_kind:     hidden_remainder_z
      - .offset:         96
        .size:           8
        .value_kind:     hidden_global_offset_x
      - .offset:         104
        .size:           8
        .value_kind:     hidden_global_offset_y
      - .offset:         112
        .size:           8
        .value_kind:     hidden_global_offset_z
      - .offset:         120
        .size:           2
        .value_kind:     hidden_grid_dims
    .group_segment_fixed_size: 0
    .kernarg_segment_align: 8
    .kernarg_segment_size: 312
    .language:       OpenCL C
    .language_version:
      - 2
      - 0
    .max_flat_workgroup_size: 128
    .name:           _Z13topk_moe_cudaILi4ELb0EEvPKfPfPiS2_iiff15topk_moe_config
    .private_segment_fixed_size: 0
    .sgpr_count:     18
    .sgpr_spill_count: 0
    .symbol:         _Z13topk_moe_cudaILi4ELb0EEvPKfPfPiS2_iiff15topk_moe_config.kd
    .uniform_work_group_size: 1
    .uses_dynamic_stack: false
    .vgpr_count:     19
    .vgpr_spill_count: 0
    .wavefront_size: 32
    .workgroup_processor_mode: 1
  - .args:
      - .address_space:  global
        .offset:         0
        .size:           8
        .value_kind:     global_buffer
      - .address_space:  global
        .offset:         8
        .size:           8
        .value_kind:     global_buffer
      - .address_space:  global
        .offset:         16
        .size:           8
        .value_kind:     global_buffer
      - .address_space:  global
        .offset:         24
        .size:           8
        .value_kind:     global_buffer
      - .offset:         32
        .size:           4
        .value_kind:     by_value
      - .offset:         36
        .size:           4
        .value_kind:     by_value
      - .offset:         40
        .size:           4
        .value_kind:     by_value
      - .offset:         44
        .size:           4
        .value_kind:     by_value
      - .offset:         48
        .size:           3
        .value_kind:     by_value
      - .offset:         56
        .size:           4
        .value_kind:     hidden_block_count_x
      - .offset:         60
        .size:           4
        .value_kind:     hidden_block_count_y
      - .offset:         64
        .size:           4
        .value_kind:     hidden_block_count_z
      - .offset:         68
        .size:           2
        .value_kind:     hidden_group_size_x
      - .offset:         70
        .size:           2
        .value_kind:     hidden_group_size_y
      - .offset:         72
        .size:           2
        .value_kind:     hidden_group_size_z
      - .offset:         74
        .size:           2
        .value_kind:     hidden_remainder_x
      - .offset:         76
        .size:           2
        .value_kind:     hidden_remainder_y
      - .offset:         78
        .size:           2
        .value_kind:     hidden_remainder_z
      - .offset:         96
        .size:           8
        .value_kind:     hidden_global_offset_x
      - .offset:         104
        .size:           8
        .value_kind:     hidden_global_offset_y
      - .offset:         112
        .size:           8
        .value_kind:     hidden_global_offset_z
      - .offset:         120
        .size:           2
        .value_kind:     hidden_grid_dims
    .group_segment_fixed_size: 0
    .kernarg_segment_align: 8
    .kernarg_segment_size: 312
    .language:       OpenCL C
    .language_version:
      - 2
      - 0
    .max_flat_workgroup_size: 128
    .name:           _Z13topk_moe_cudaILi8ELb0EEvPKfPfPiS2_iiff15topk_moe_config
    .private_segment_fixed_size: 0
    .sgpr_count:     18
    .sgpr_spill_count: 0
    .symbol:         _Z13topk_moe_cudaILi8ELb0EEvPKfPfPiS2_iiff15topk_moe_config.kd
    .uniform_work_group_size: 1
    .uses_dynamic_stack: false
    .vgpr_count:     19
    .vgpr_spill_count: 0
    .wavefront_size: 32
    .workgroup_processor_mode: 1
  - .args:
      - .address_space:  global
        .offset:         0
        .size:           8
        .value_kind:     global_buffer
      - .address_space:  global
        .offset:         8
        .size:           8
        .value_kind:     global_buffer
      - .address_space:  global
        .offset:         16
        .size:           8
        .value_kind:     global_buffer
      - .address_space:  global
        .offset:         24
        .size:           8
        .value_kind:     global_buffer
      - .offset:         32
        .size:           4
        .value_kind:     by_value
      - .offset:         36
        .size:           4
        .value_kind:     by_value
      - .offset:         40
        .size:           4
        .value_kind:     by_value
      - .offset:         44
        .size:           4
        .value_kind:     by_value
      - .offset:         48
        .size:           3
        .value_kind:     by_value
      - .offset:         56
        .size:           4
        .value_kind:     hidden_block_count_x
      - .offset:         60
        .size:           4
        .value_kind:     hidden_block_count_y
      - .offset:         64
        .size:           4
        .value_kind:     hidden_block_count_z
      - .offset:         68
        .size:           2
        .value_kind:     hidden_group_size_x
      - .offset:         70
        .size:           2
        .value_kind:     hidden_group_size_y
      - .offset:         72
        .size:           2
        .value_kind:     hidden_group_size_z
      - .offset:         74
        .size:           2
        .value_kind:     hidden_remainder_x
      - .offset:         76
        .size:           2
        .value_kind:     hidden_remainder_y
      - .offset:         78
        .size:           2
        .value_kind:     hidden_remainder_z
      - .offset:         96
        .size:           8
        .value_kind:     hidden_global_offset_x
      - .offset:         104
        .size:           8
        .value_kind:     hidden_global_offset_y
      - .offset:         112
        .size:           8
        .value_kind:     hidden_global_offset_z
      - .offset:         120
        .size:           2
        .value_kind:     hidden_grid_dims
    .group_segment_fixed_size: 0
    .kernarg_segment_align: 8
    .kernarg_segment_size: 312
    .language:       OpenCL C
    .language_version:
      - 2
      - 0
    .max_flat_workgroup_size: 128
    .name:           _Z13topk_moe_cudaILi16ELb0EEvPKfPfPiS2_iiff15topk_moe_config
    .private_segment_fixed_size: 0
    .sgpr_count:     18
    .sgpr_spill_count: 0
    .symbol:         _Z13topk_moe_cudaILi16ELb0EEvPKfPfPiS2_iiff15topk_moe_config.kd
    .uniform_work_group_size: 1
    .uses_dynamic_stack: false
    .vgpr_count:     19
    .vgpr_spill_count: 0
    .wavefront_size: 32
    .workgroup_processor_mode: 1
  - .args:
      - .address_space:  global
        .offset:         0
        .size:           8
        .value_kind:     global_buffer
      - .address_space:  global
        .offset:         8
        .size:           8
        .value_kind:     global_buffer
      - .address_space:  global
        .offset:         16
        .size:           8
        .value_kind:     global_buffer
      - .address_space:  global
        .offset:         24
        .size:           8
        .value_kind:     global_buffer
      - .offset:         32
        .size:           4
        .value_kind:     by_value
      - .offset:         36
        .size:           4
        .value_kind:     by_value
      - .offset:         40
        .size:           4
        .value_kind:     by_value
      - .offset:         44
        .size:           4
        .value_kind:     by_value
      - .offset:         48
        .size:           3
        .value_kind:     by_value
      - .offset:         56
        .size:           4
        .value_kind:     hidden_block_count_x
      - .offset:         60
        .size:           4
        .value_kind:     hidden_block_count_y
      - .offset:         64
        .size:           4
        .value_kind:     hidden_block_count_z
      - .offset:         68
        .size:           2
        .value_kind:     hidden_group_size_x
      - .offset:         70
        .size:           2
        .value_kind:     hidden_group_size_y
      - .offset:         72
        .size:           2
        .value_kind:     hidden_group_size_z
      - .offset:         74
        .size:           2
        .value_kind:     hidden_remainder_x
      - .offset:         76
        .size:           2
        .value_kind:     hidden_remainder_y
      - .offset:         78
        .size:           2
        .value_kind:     hidden_remainder_z
      - .offset:         96
        .size:           8
        .value_kind:     hidden_global_offset_x
      - .offset:         104
        .size:           8
        .value_kind:     hidden_global_offset_y
      - .offset:         112
        .size:           8
        .value_kind:     hidden_global_offset_z
      - .offset:         120
        .size:           2
        .value_kind:     hidden_grid_dims
    .group_segment_fixed_size: 0
    .kernarg_segment_align: 8
    .kernarg_segment_size: 312
    .language:       OpenCL C
    .language_version:
      - 2
      - 0
    .max_flat_workgroup_size: 128
    .name:           _Z13topk_moe_cudaILi32ELb0EEvPKfPfPiS2_iiff15topk_moe_config
    .private_segment_fixed_size: 0
    .sgpr_count:     18
    .sgpr_spill_count: 0
    .symbol:         _Z13topk_moe_cudaILi32ELb0EEvPKfPfPiS2_iiff15topk_moe_config.kd
    .uniform_work_group_size: 1
    .uses_dynamic_stack: false
    .vgpr_count:     19
    .vgpr_spill_count: 0
    .wavefront_size: 32
    .workgroup_processor_mode: 1
  - .args:
      - .address_space:  global
        .offset:         0
        .size:           8
        .value_kind:     global_buffer
      - .address_space:  global
        .offset:         8
        .size:           8
        .value_kind:     global_buffer
      - .address_space:  global
        .offset:         16
        .size:           8
        .value_kind:     global_buffer
      - .address_space:  global
        .offset:         24
        .size:           8
        .value_kind:     global_buffer
      - .offset:         32
        .size:           4
        .value_kind:     by_value
      - .offset:         36
        .size:           4
        .value_kind:     by_value
      - .offset:         40
        .size:           4
        .value_kind:     by_value
      - .offset:         44
        .size:           4
        .value_kind:     by_value
      - .offset:         48
        .size:           3
        .value_kind:     by_value
      - .offset:         56
        .size:           4
        .value_kind:     hidden_block_count_x
      - .offset:         60
        .size:           4
        .value_kind:     hidden_block_count_y
      - .offset:         64
        .size:           4
        .value_kind:     hidden_block_count_z
      - .offset:         68
        .size:           2
        .value_kind:     hidden_group_size_x
      - .offset:         70
        .size:           2
        .value_kind:     hidden_group_size_y
      - .offset:         72
        .size:           2
        .value_kind:     hidden_group_size_z
      - .offset:         74
        .size:           2
        .value_kind:     hidden_remainder_x
      - .offset:         76
        .size:           2
        .value_kind:     hidden_remainder_y
      - .offset:         78
        .size:           2
        .value_kind:     hidden_remainder_z
      - .offset:         96
        .size:           8
        .value_kind:     hidden_global_offset_x
      - .offset:         104
        .size:           8
        .value_kind:     hidden_global_offset_y
      - .offset:         112
        .size:           8
        .value_kind:     hidden_global_offset_z
      - .offset:         120
        .size:           2
        .value_kind:     hidden_grid_dims
    .group_segment_fixed_size: 0
    .kernarg_segment_align: 8
    .kernarg_segment_size: 312
    .language:       OpenCL C
    .language_version:
      - 2
      - 0
    .max_flat_workgroup_size: 128
    .name:           _Z13topk_moe_cudaILi64ELb0EEvPKfPfPiS2_iiff15topk_moe_config
    .private_segment_fixed_size: 0
    .sgpr_count:     18
    .sgpr_spill_count: 0
    .symbol:         _Z13topk_moe_cudaILi64ELb0EEvPKfPfPiS2_iiff15topk_moe_config.kd
    .uniform_work_group_size: 1
    .uses_dynamic_stack: false
    .vgpr_count:     21
    .vgpr_spill_count: 0
    .wavefront_size: 32
    .workgroup_processor_mode: 1
  - .args:
      - .address_space:  global
        .offset:         0
        .size:           8
        .value_kind:     global_buffer
      - .address_space:  global
        .offset:         8
        .size:           8
        .value_kind:     global_buffer
      - .address_space:  global
        .offset:         16
        .size:           8
        .value_kind:     global_buffer
      - .address_space:  global
        .offset:         24
        .size:           8
        .value_kind:     global_buffer
      - .offset:         32
        .size:           4
        .value_kind:     by_value
      - .offset:         36
        .size:           4
        .value_kind:     by_value
      - .offset:         40
        .size:           4
        .value_kind:     by_value
      - .offset:         44
        .size:           4
        .value_kind:     by_value
      - .offset:         48
        .size:           3
        .value_kind:     by_value
      - .offset:         56
        .size:           4
        .value_kind:     hidden_block_count_x
      - .offset:         60
        .size:           4
        .value_kind:     hidden_block_count_y
      - .offset:         64
        .size:           4
        .value_kind:     hidden_block_count_z
      - .offset:         68
        .size:           2
        .value_kind:     hidden_group_size_x
      - .offset:         70
        .size:           2
        .value_kind:     hidden_group_size_y
      - .offset:         72
        .size:           2
        .value_kind:     hidden_group_size_z
      - .offset:         74
        .size:           2
        .value_kind:     hidden_remainder_x
      - .offset:         76
        .size:           2
        .value_kind:     hidden_remainder_y
      - .offset:         78
        .size:           2
        .value_kind:     hidden_remainder_z
      - .offset:         96
        .size:           8
        .value_kind:     hidden_global_offset_x
      - .offset:         104
        .size:           8
        .value_kind:     hidden_global_offset_y
      - .offset:         112
        .size:           8
        .value_kind:     hidden_global_offset_z
      - .offset:         120
        .size:           2
        .value_kind:     hidden_grid_dims
    .group_segment_fixed_size: 0
    .kernarg_segment_align: 8
    .kernarg_segment_size: 312
    .language:       OpenCL C
    .language_version:
      - 2
      - 0
    .max_flat_workgroup_size: 128
    .name:           _Z13topk_moe_cudaILi128ELb0EEvPKfPfPiS2_iiff15topk_moe_config
    .private_segment_fixed_size: 0
    .sgpr_count:     18
    .sgpr_spill_count: 0
    .symbol:         _Z13topk_moe_cudaILi128ELb0EEvPKfPfPiS2_iiff15topk_moe_config.kd
    .uniform_work_group_size: 1
    .uses_dynamic_stack: false
    .vgpr_count:     31
    .vgpr_spill_count: 0
    .wavefront_size: 32
    .workgroup_processor_mode: 1
  - .args:
      - .address_space:  global
        .offset:         0
        .size:           8
        .value_kind:     global_buffer
      - .address_space:  global
        .offset:         8
        .size:           8
        .value_kind:     global_buffer
      - .address_space:  global
        .offset:         16
        .size:           8
        .value_kind:     global_buffer
      - .address_space:  global
        .offset:         24
        .size:           8
        .value_kind:     global_buffer
      - .offset:         32
        .size:           4
        .value_kind:     by_value
      - .offset:         36
        .size:           4
        .value_kind:     by_value
      - .offset:         40
        .size:           4
        .value_kind:     by_value
      - .offset:         44
        .size:           4
        .value_kind:     by_value
      - .offset:         48
        .size:           3
        .value_kind:     by_value
      - .offset:         56
        .size:           4
        .value_kind:     hidden_block_count_x
      - .offset:         60
        .size:           4
        .value_kind:     hidden_block_count_y
      - .offset:         64
        .size:           4
        .value_kind:     hidden_block_count_z
      - .offset:         68
        .size:           2
        .value_kind:     hidden_group_size_x
      - .offset:         70
        .size:           2
        .value_kind:     hidden_group_size_y
      - .offset:         72
        .size:           2
        .value_kind:     hidden_group_size_z
      - .offset:         74
        .size:           2
        .value_kind:     hidden_remainder_x
      - .offset:         76
        .size:           2
        .value_kind:     hidden_remainder_y
      - .offset:         78
        .size:           2
        .value_kind:     hidden_remainder_z
      - .offset:         96
        .size:           8
        .value_kind:     hidden_global_offset_x
      - .offset:         104
        .size:           8
        .value_kind:     hidden_global_offset_y
      - .offset:         112
        .size:           8
        .value_kind:     hidden_global_offset_z
      - .offset:         120
        .size:           2
        .value_kind:     hidden_grid_dims
    .group_segment_fixed_size: 0
    .kernarg_segment_align: 8
    .kernarg_segment_size: 312
    .language:       OpenCL C
    .language_version:
      - 2
      - 0
    .max_flat_workgroup_size: 128
    .name:           _Z13topk_moe_cudaILi256ELb0EEvPKfPfPiS2_iiff15topk_moe_config
    .private_segment_fixed_size: 0
    .sgpr_count:     18
    .sgpr_spill_count: 0
    .symbol:         _Z13topk_moe_cudaILi256ELb0EEvPKfPfPiS2_iiff15topk_moe_config.kd
    .uniform_work_group_size: 1
    .uses_dynamic_stack: false
    .vgpr_count:     51
    .vgpr_spill_count: 0
    .wavefront_size: 32
    .workgroup_processor_mode: 1
  - .args:
      - .address_space:  global
        .offset:         0
        .size:           8
        .value_kind:     global_buffer
      - .address_space:  global
        .offset:         8
        .size:           8
        .value_kind:     global_buffer
      - .address_space:  global
        .offset:         16
        .size:           8
        .value_kind:     global_buffer
      - .address_space:  global
        .offset:         24
        .size:           8
        .value_kind:     global_buffer
      - .offset:         32
        .size:           4
        .value_kind:     by_value
      - .offset:         36
        .size:           4
        .value_kind:     by_value
      - .offset:         40
        .size:           4
        .value_kind:     by_value
      - .offset:         44
        .size:           4
        .value_kind:     by_value
      - .offset:         48
        .size:           3
        .value_kind:     by_value
      - .offset:         56
        .size:           4
        .value_kind:     hidden_block_count_x
      - .offset:         60
        .size:           4
        .value_kind:     hidden_block_count_y
      - .offset:         64
        .size:           4
        .value_kind:     hidden_block_count_z
      - .offset:         68
        .size:           2
        .value_kind:     hidden_group_size_x
      - .offset:         70
        .size:           2
        .value_kind:     hidden_group_size_y
      - .offset:         72
        .size:           2
        .value_kind:     hidden_group_size_z
      - .offset:         74
        .size:           2
        .value_kind:     hidden_remainder_x
      - .offset:         76
        .size:           2
        .value_kind:     hidden_remainder_y
      - .offset:         78
        .size:           2
        .value_kind:     hidden_remainder_z
      - .offset:         96
        .size:           8
        .value_kind:     hidden_global_offset_x
      - .offset:         104
        .size:           8
        .value_kind:     hidden_global_offset_y
      - .offset:         112
        .size:           8
        .value_kind:     hidden_global_offset_z
      - .offset:         120
        .size:           2
        .value_kind:     hidden_grid_dims
    .group_segment_fixed_size: 0
    .kernarg_segment_align: 8
    .kernarg_segment_size: 312
    .language:       OpenCL C
    .language_version:
      - 2
      - 0
    .max_flat_workgroup_size: 128
    .name:           _Z13topk_moe_cudaILi512ELb0EEvPKfPfPiS2_iiff15topk_moe_config
    .private_segment_fixed_size: 0
    .sgpr_count:     28
    .sgpr_spill_count: 0
    .symbol:         _Z13topk_moe_cudaILi512ELb0EEvPKfPfPiS2_iiff15topk_moe_config.kd
    .uniform_work_group_size: 1
    .uses_dynamic_stack: false
    .vgpr_count:     91
    .vgpr_spill_count: 0
    .wavefront_size: 32
    .workgroup_processor_mode: 1
  - .args:
      - .address_space:  global
        .offset:         0
        .size:           8
        .value_kind:     global_buffer
      - .address_space:  global
        .offset:         8
        .size:           8
        .value_kind:     global_buffer
      - .address_space:  global
        .offset:         16
        .size:           8
        .value_kind:     global_buffer
      - .address_space:  global
        .offset:         24
        .size:           8
        .value_kind:     global_buffer
      - .offset:         32
        .size:           4
        .value_kind:     by_value
      - .offset:         36
        .size:           4
        .value_kind:     by_value
      - .offset:         40
        .size:           4
        .value_kind:     by_value
      - .offset:         44
        .size:           4
        .value_kind:     by_value
      - .offset:         48
        .size:           3
        .value_kind:     by_value
      - .offset:         56
        .size:           4
        .value_kind:     hidden_block_count_x
      - .offset:         60
        .size:           4
        .value_kind:     hidden_block_count_y
      - .offset:         64
        .size:           4
        .value_kind:     hidden_block_count_z
      - .offset:         68
        .size:           2
        .value_kind:     hidden_group_size_x
      - .offset:         70
        .size:           2
        .value_kind:     hidden_group_size_y
      - .offset:         72
        .size:           2
        .value_kind:     hidden_group_size_z
      - .offset:         74
        .size:           2
        .value_kind:     hidden_remainder_x
      - .offset:         76
        .size:           2
        .value_kind:     hidden_remainder_y
      - .offset:         78
        .size:           2
        .value_kind:     hidden_remainder_z
      - .offset:         96
        .size:           8
        .value_kind:     hidden_global_offset_x
      - .offset:         104
        .size:           8
        .value_kind:     hidden_global_offset_y
      - .offset:         112
        .size:           8
        .value_kind:     hidden_global_offset_z
      - .offset:         120
        .size:           2
        .value_kind:     hidden_grid_dims
    .group_segment_fixed_size: 0
    .kernarg_segment_align: 8
    .kernarg_segment_size: 312
    .language:       OpenCL C
    .language_version:
      - 2
      - 0
    .max_flat_workgroup_size: 128
    .name:           _Z13topk_moe_cudaILi576ELb0EEvPKfPfPiS2_iiff15topk_moe_config
    .private_segment_fixed_size: 160
    .sgpr_count:     58
    .sgpr_spill_count: 0
    .symbol:         _Z13topk_moe_cudaILi576ELb0EEvPKfPfPiS2_iiff15topk_moe_config.kd
    .uniform_work_group_size: 1
    .uses_dynamic_stack: false
    .vgpr_count:     98
    .vgpr_spill_count: 0
    .wavefront_size: 32
    .workgroup_processor_mode: 1
amdhsa.target:   amdgcn-amd-amdhsa--gfx1100
amdhsa.version:
  - 1
  - 2
...

	.end_amdgpu_metadata
